;; amdgpu-corpus repo=ROCm/rocFFT kind=compiled arch=gfx1201 opt=O3
	.text
	.amdgcn_target "amdgcn-amd-amdhsa--gfx1201"
	.amdhsa_code_object_version 6
	.protected	fft_rtc_fwd_len840_factors_2_2_2_3_5_7_wgs_56_tpt_56_halfLds_dp_op_CI_CI_unitstride_sbrr_dirReg ; -- Begin function fft_rtc_fwd_len840_factors_2_2_2_3_5_7_wgs_56_tpt_56_halfLds_dp_op_CI_CI_unitstride_sbrr_dirReg
	.globl	fft_rtc_fwd_len840_factors_2_2_2_3_5_7_wgs_56_tpt_56_halfLds_dp_op_CI_CI_unitstride_sbrr_dirReg
	.p2align	8
	.type	fft_rtc_fwd_len840_factors_2_2_2_3_5_7_wgs_56_tpt_56_halfLds_dp_op_CI_CI_unitstride_sbrr_dirReg,@function
fft_rtc_fwd_len840_factors_2_2_2_3_5_7_wgs_56_tpt_56_halfLds_dp_op_CI_CI_unitstride_sbrr_dirReg: ; @fft_rtc_fwd_len840_factors_2_2_2_3_5_7_wgs_56_tpt_56_halfLds_dp_op_CI_CI_unitstride_sbrr_dirReg
; %bb.0:
	s_clause 0x2
	s_load_b128 s[4:7], s[0:1], 0x0
	s_load_b128 s[8:11], s[0:1], 0x58
	;; [unrolled: 1-line block ×3, first 2 shown]
	v_mul_u32_u24_e32 v1, 0x493, v0
	v_mov_b32_e32 v4, 0
	v_mov_b32_e32 v5, 0
	s_delay_alu instid0(VALU_DEP_3) | instskip(NEXT) | instid1(VALU_DEP_1)
	v_lshrrev_b32_e32 v2, 16, v1
	v_dual_mov_b32 v1, 0 :: v_dual_add_nc_u32 v6, ttmp9, v2
	s_delay_alu instid0(VALU_DEP_1) | instskip(SKIP_2) | instid1(VALU_DEP_1)
	v_mov_b32_e32 v7, v1
	s_wait_kmcnt 0x0
	v_cmp_lt_u64_e64 s2, s[6:7], 2
	s_and_b32 vcc_lo, exec_lo, s2
	s_cbranch_vccnz .LBB0_8
; %bb.1:
	s_load_b64 s[2:3], s[0:1], 0x10
	v_mov_b32_e32 v4, 0
	v_mov_b32_e32 v5, 0
	s_add_nc_u64 s[16:17], s[14:15], 8
	s_add_nc_u64 s[18:19], s[12:13], 8
	s_mov_b64 s[20:21], 1
	s_delay_alu instid0(VALU_DEP_1)
	v_dual_mov_b32 v97, v5 :: v_dual_mov_b32 v96, v4
	s_wait_kmcnt 0x0
	s_add_nc_u64 s[22:23], s[2:3], 8
	s_mov_b32 s3, 0
.LBB0_2:                                ; =>This Inner Loop Header: Depth=1
	s_load_b64 s[24:25], s[22:23], 0x0
                                        ; implicit-def: $vgpr98_vgpr99
	s_mov_b32 s2, exec_lo
	s_wait_kmcnt 0x0
	v_or_b32_e32 v2, s25, v7
	s_delay_alu instid0(VALU_DEP_1)
	v_cmpx_ne_u64_e32 0, v[1:2]
	s_wait_alu 0xfffe
	s_xor_b32 s26, exec_lo, s2
	s_cbranch_execz .LBB0_4
; %bb.3:                                ;   in Loop: Header=BB0_2 Depth=1
	s_cvt_f32_u32 s2, s24
	s_cvt_f32_u32 s27, s25
	s_sub_nc_u64 s[30:31], 0, s[24:25]
	s_wait_alu 0xfffe
	s_delay_alu instid0(SALU_CYCLE_1) | instskip(SKIP_1) | instid1(SALU_CYCLE_2)
	s_fmamk_f32 s2, s27, 0x4f800000, s2
	s_wait_alu 0xfffe
	v_s_rcp_f32 s2, s2
	s_delay_alu instid0(TRANS32_DEP_1) | instskip(SKIP_1) | instid1(SALU_CYCLE_2)
	s_mul_f32 s2, s2, 0x5f7ffffc
	s_wait_alu 0xfffe
	s_mul_f32 s27, s2, 0x2f800000
	s_wait_alu 0xfffe
	s_delay_alu instid0(SALU_CYCLE_2) | instskip(SKIP_1) | instid1(SALU_CYCLE_2)
	s_trunc_f32 s27, s27
	s_wait_alu 0xfffe
	s_fmamk_f32 s2, s27, 0xcf800000, s2
	s_cvt_u32_f32 s29, s27
	s_wait_alu 0xfffe
	s_delay_alu instid0(SALU_CYCLE_1) | instskip(SKIP_1) | instid1(SALU_CYCLE_2)
	s_cvt_u32_f32 s28, s2
	s_wait_alu 0xfffe
	s_mul_u64 s[34:35], s[30:31], s[28:29]
	s_wait_alu 0xfffe
	s_mul_hi_u32 s37, s28, s35
	s_mul_i32 s36, s28, s35
	s_mul_hi_u32 s2, s28, s34
	s_mul_i32 s33, s29, s34
	s_wait_alu 0xfffe
	s_add_nc_u64 s[36:37], s[2:3], s[36:37]
	s_mul_hi_u32 s27, s29, s34
	s_mul_hi_u32 s38, s29, s35
	s_add_co_u32 s2, s36, s33
	s_wait_alu 0xfffe
	s_add_co_ci_u32 s2, s37, s27
	s_mul_i32 s34, s29, s35
	s_add_co_ci_u32 s35, s38, 0
	s_wait_alu 0xfffe
	s_add_nc_u64 s[34:35], s[2:3], s[34:35]
	s_wait_alu 0xfffe
	v_add_co_u32 v2, s2, s28, s34
	s_delay_alu instid0(VALU_DEP_1) | instskip(SKIP_1) | instid1(VALU_DEP_1)
	s_cmp_lg_u32 s2, 0
	s_add_co_ci_u32 s29, s29, s35
	v_readfirstlane_b32 s28, v2
	s_wait_alu 0xfffe
	s_delay_alu instid0(VALU_DEP_1)
	s_mul_u64 s[30:31], s[30:31], s[28:29]
	s_wait_alu 0xfffe
	s_mul_hi_u32 s35, s28, s31
	s_mul_i32 s34, s28, s31
	s_mul_hi_u32 s2, s28, s30
	s_mul_i32 s33, s29, s30
	s_wait_alu 0xfffe
	s_add_nc_u64 s[34:35], s[2:3], s[34:35]
	s_mul_hi_u32 s27, s29, s30
	s_mul_hi_u32 s28, s29, s31
	s_wait_alu 0xfffe
	s_add_co_u32 s2, s34, s33
	s_add_co_ci_u32 s2, s35, s27
	s_mul_i32 s30, s29, s31
	s_add_co_ci_u32 s31, s28, 0
	s_wait_alu 0xfffe
	s_add_nc_u64 s[30:31], s[2:3], s[30:31]
	s_wait_alu 0xfffe
	v_add_co_u32 v8, s2, v2, s30
	s_delay_alu instid0(VALU_DEP_1) | instskip(SKIP_1) | instid1(VALU_DEP_1)
	s_cmp_lg_u32 s2, 0
	s_add_co_ci_u32 s2, s29, s31
	v_mul_hi_u32 v12, v6, v8
	s_wait_alu 0xfffe
	v_mad_co_u64_u32 v[2:3], null, v6, s2, 0
	v_mad_co_u64_u32 v[8:9], null, v7, v8, 0
	;; [unrolled: 1-line block ×3, first 2 shown]
	s_delay_alu instid0(VALU_DEP_3) | instskip(SKIP_1) | instid1(VALU_DEP_4)
	v_add_co_u32 v2, vcc_lo, v12, v2
	s_wait_alu 0xfffd
	v_add_co_ci_u32_e32 v3, vcc_lo, 0, v3, vcc_lo
	s_delay_alu instid0(VALU_DEP_2) | instskip(SKIP_1) | instid1(VALU_DEP_2)
	v_add_co_u32 v2, vcc_lo, v2, v8
	s_wait_alu 0xfffd
	v_add_co_ci_u32_e32 v2, vcc_lo, v3, v9, vcc_lo
	s_wait_alu 0xfffd
	v_add_co_ci_u32_e32 v3, vcc_lo, 0, v11, vcc_lo
	s_delay_alu instid0(VALU_DEP_2) | instskip(SKIP_1) | instid1(VALU_DEP_2)
	v_add_co_u32 v8, vcc_lo, v2, v10
	s_wait_alu 0xfffd
	v_add_co_ci_u32_e32 v9, vcc_lo, 0, v3, vcc_lo
	s_delay_alu instid0(VALU_DEP_2) | instskip(SKIP_1) | instid1(VALU_DEP_3)
	v_mul_lo_u32 v10, s25, v8
	v_mad_co_u64_u32 v[2:3], null, s24, v8, 0
	v_mul_lo_u32 v11, s24, v9
	s_delay_alu instid0(VALU_DEP_2) | instskip(NEXT) | instid1(VALU_DEP_2)
	v_sub_co_u32 v2, vcc_lo, v6, v2
	v_add3_u32 v3, v3, v11, v10
	s_delay_alu instid0(VALU_DEP_1) | instskip(SKIP_1) | instid1(VALU_DEP_1)
	v_sub_nc_u32_e32 v10, v7, v3
	s_wait_alu 0xfffd
	v_subrev_co_ci_u32_e64 v10, s2, s25, v10, vcc_lo
	v_add_co_u32 v11, s2, v8, 2
	s_wait_alu 0xf1ff
	v_add_co_ci_u32_e64 v12, s2, 0, v9, s2
	v_sub_co_u32 v13, s2, v2, s24
	v_sub_co_ci_u32_e32 v3, vcc_lo, v7, v3, vcc_lo
	s_wait_alu 0xf1ff
	v_subrev_co_ci_u32_e64 v10, s2, 0, v10, s2
	s_delay_alu instid0(VALU_DEP_3) | instskip(NEXT) | instid1(VALU_DEP_3)
	v_cmp_le_u32_e32 vcc_lo, s24, v13
	v_cmp_eq_u32_e64 s2, s25, v3
	s_wait_alu 0xfffd
	v_cndmask_b32_e64 v13, 0, -1, vcc_lo
	v_cmp_le_u32_e32 vcc_lo, s25, v10
	s_wait_alu 0xfffd
	v_cndmask_b32_e64 v14, 0, -1, vcc_lo
	v_cmp_le_u32_e32 vcc_lo, s24, v2
	;; [unrolled: 3-line block ×3, first 2 shown]
	s_wait_alu 0xfffd
	v_cndmask_b32_e64 v15, 0, -1, vcc_lo
	v_cmp_eq_u32_e32 vcc_lo, s25, v10
	s_wait_alu 0xf1ff
	s_delay_alu instid0(VALU_DEP_2)
	v_cndmask_b32_e64 v2, v15, v2, s2
	s_wait_alu 0xfffd
	v_cndmask_b32_e32 v10, v14, v13, vcc_lo
	v_add_co_u32 v13, vcc_lo, v8, 1
	s_wait_alu 0xfffd
	v_add_co_ci_u32_e32 v14, vcc_lo, 0, v9, vcc_lo
	s_delay_alu instid0(VALU_DEP_3) | instskip(SKIP_1) | instid1(VALU_DEP_2)
	v_cmp_ne_u32_e32 vcc_lo, 0, v10
	s_wait_alu 0xfffd
	v_dual_cndmask_b32 v3, v14, v12 :: v_dual_cndmask_b32 v10, v13, v11
	v_cmp_ne_u32_e32 vcc_lo, 0, v2
	s_wait_alu 0xfffd
	s_delay_alu instid0(VALU_DEP_2)
	v_dual_cndmask_b32 v99, v9, v3 :: v_dual_cndmask_b32 v98, v8, v10
.LBB0_4:                                ;   in Loop: Header=BB0_2 Depth=1
	s_wait_alu 0xfffe
	s_and_not1_saveexec_b32 s2, s26
	s_cbranch_execz .LBB0_6
; %bb.5:                                ;   in Loop: Header=BB0_2 Depth=1
	v_cvt_f32_u32_e32 v2, s24
	s_sub_co_i32 s26, 0, s24
	v_mov_b32_e32 v99, v1
	s_delay_alu instid0(VALU_DEP_2) | instskip(NEXT) | instid1(TRANS32_DEP_1)
	v_rcp_iflag_f32_e32 v2, v2
	v_mul_f32_e32 v2, 0x4f7ffffe, v2
	s_delay_alu instid0(VALU_DEP_1) | instskip(SKIP_1) | instid1(VALU_DEP_1)
	v_cvt_u32_f32_e32 v2, v2
	s_wait_alu 0xfffe
	v_mul_lo_u32 v3, s26, v2
	s_delay_alu instid0(VALU_DEP_1) | instskip(NEXT) | instid1(VALU_DEP_1)
	v_mul_hi_u32 v3, v2, v3
	v_add_nc_u32_e32 v2, v2, v3
	s_delay_alu instid0(VALU_DEP_1) | instskip(NEXT) | instid1(VALU_DEP_1)
	v_mul_hi_u32 v2, v6, v2
	v_mul_lo_u32 v3, v2, s24
	v_add_nc_u32_e32 v8, 1, v2
	s_delay_alu instid0(VALU_DEP_2) | instskip(NEXT) | instid1(VALU_DEP_1)
	v_sub_nc_u32_e32 v3, v6, v3
	v_subrev_nc_u32_e32 v9, s24, v3
	v_cmp_le_u32_e32 vcc_lo, s24, v3
	s_wait_alu 0xfffd
	s_delay_alu instid0(VALU_DEP_2) | instskip(NEXT) | instid1(VALU_DEP_1)
	v_dual_cndmask_b32 v3, v3, v9 :: v_dual_cndmask_b32 v2, v2, v8
	v_cmp_le_u32_e32 vcc_lo, s24, v3
	s_delay_alu instid0(VALU_DEP_2) | instskip(SKIP_1) | instid1(VALU_DEP_1)
	v_add_nc_u32_e32 v8, 1, v2
	s_wait_alu 0xfffd
	v_cndmask_b32_e32 v98, v2, v8, vcc_lo
.LBB0_6:                                ;   in Loop: Header=BB0_2 Depth=1
	s_wait_alu 0xfffe
	s_or_b32 exec_lo, exec_lo, s2
	v_mul_lo_u32 v8, v99, s24
	s_delay_alu instid0(VALU_DEP_2)
	v_mul_lo_u32 v9, v98, s25
	s_load_b64 s[26:27], s[18:19], 0x0
	v_mad_co_u64_u32 v[2:3], null, v98, s24, 0
	s_load_b64 s[24:25], s[16:17], 0x0
	s_add_nc_u64 s[20:21], s[20:21], 1
	s_add_nc_u64 s[16:17], s[16:17], 8
	s_wait_alu 0xfffe
	v_cmp_ge_u64_e64 s2, s[20:21], s[6:7]
	s_add_nc_u64 s[18:19], s[18:19], 8
	s_add_nc_u64 s[22:23], s[22:23], 8
	v_add3_u32 v3, v3, v9, v8
	v_sub_co_u32 v2, vcc_lo, v6, v2
	s_wait_alu 0xfffd
	s_delay_alu instid0(VALU_DEP_2) | instskip(SKIP_2) | instid1(VALU_DEP_1)
	v_sub_co_ci_u32_e32 v3, vcc_lo, v7, v3, vcc_lo
	s_and_b32 vcc_lo, exec_lo, s2
	s_wait_kmcnt 0x0
	v_mul_lo_u32 v6, s26, v3
	v_mul_lo_u32 v7, s27, v2
	v_mad_co_u64_u32 v[4:5], null, s26, v2, v[4:5]
	v_mul_lo_u32 v3, s24, v3
	v_mul_lo_u32 v8, s25, v2
	v_mad_co_u64_u32 v[96:97], null, s24, v2, v[96:97]
	s_delay_alu instid0(VALU_DEP_4) | instskip(NEXT) | instid1(VALU_DEP_2)
	v_add3_u32 v5, v7, v5, v6
	v_add3_u32 v97, v8, v97, v3
	s_wait_alu 0xfffe
	s_cbranch_vccnz .LBB0_9
; %bb.7:                                ;   in Loop: Header=BB0_2 Depth=1
	v_dual_mov_b32 v6, v98 :: v_dual_mov_b32 v7, v99
	s_branch .LBB0_2
.LBB0_8:
	v_dual_mov_b32 v97, v5 :: v_dual_mov_b32 v96, v4
	v_dual_mov_b32 v99, v7 :: v_dual_mov_b32 v98, v6
.LBB0_9:
	s_load_b64 s[0:1], s[0:1], 0x28
	v_mul_hi_u32 v1, 0x4924925, v0
	s_lshl_b64 s[6:7], s[6:7], 3
                                        ; implicit-def: $vgpr102
	s_wait_alu 0xfffe
	s_add_nc_u64 s[2:3], s[14:15], s[6:7]
	s_wait_kmcnt 0x0
	v_cmp_gt_u64_e32 vcc_lo, s[0:1], v[98:99]
	v_cmp_le_u64_e64 s0, s[0:1], v[98:99]
	s_delay_alu instid0(VALU_DEP_1)
	s_and_saveexec_b32 s1, s0
	s_wait_alu 0xfffe
	s_xor_b32 s0, exec_lo, s1
; %bb.10:
	v_mul_u32_u24_e32 v1, 56, v1
                                        ; implicit-def: $vgpr4_vgpr5
	s_delay_alu instid0(VALU_DEP_1)
	v_sub_nc_u32_e32 v102, v0, v1
                                        ; implicit-def: $vgpr1
                                        ; implicit-def: $vgpr0
; %bb.11:
	s_wait_alu 0xfffe
	s_or_saveexec_b32 s1, s0
	s_load_b64 s[2:3], s[2:3], 0x0
                                        ; implicit-def: $vgpr62_vgpr63
                                        ; implicit-def: $vgpr46_vgpr47
                                        ; implicit-def: $vgpr54_vgpr55
                                        ; implicit-def: $vgpr30_vgpr31
                                        ; implicit-def: $vgpr58_vgpr59
                                        ; implicit-def: $vgpr22_vgpr23
                                        ; implicit-def: $vgpr50_vgpr51
                                        ; implicit-def: $vgpr18_vgpr19
                                        ; implicit-def: $vgpr42_vgpr43
                                        ; implicit-def: $vgpr14_vgpr15
                                        ; implicit-def: $vgpr38_vgpr39
                                        ; implicit-def: $vgpr10_vgpr11
                                        ; implicit-def: $vgpr34_vgpr35
                                        ; implicit-def: $vgpr6_vgpr7
                                        ; implicit-def: $vgpr66_vgpr67
                                        ; implicit-def: $vgpr2_vgpr3
	s_xor_b32 exec_lo, exec_lo, s1
	s_cbranch_execz .LBB0_15
; %bb.12:
	s_add_nc_u64 s[6:7], s[12:13], s[6:7]
                                        ; implicit-def: $vgpr44_vgpr45
                                        ; implicit-def: $vgpr60_vgpr61
	s_load_b64 s[6:7], s[6:7], 0x0
	s_wait_kmcnt 0x0
	v_mul_lo_u32 v6, s7, v98
	v_mul_lo_u32 v7, s6, v99
	v_mad_co_u64_u32 v[2:3], null, s6, v98, 0
	s_mov_b32 s6, exec_lo
	s_delay_alu instid0(VALU_DEP_1) | instskip(SKIP_1) | instid1(VALU_DEP_2)
	v_add3_u32 v3, v3, v7, v6
	v_mul_u32_u24_e32 v6, 56, v1
	v_lshlrev_b64_e32 v[1:2], 4, v[2:3]
	v_lshlrev_b64_e32 v[3:4], 4, v[4:5]
	s_delay_alu instid0(VALU_DEP_3) | instskip(NEXT) | instid1(VALU_DEP_3)
	v_sub_nc_u32_e32 v102, v0, v6
	v_add_co_u32 v0, s0, s8, v1
	s_wait_alu 0xf1ff
	s_delay_alu instid0(VALU_DEP_4) | instskip(NEXT) | instid1(VALU_DEP_3)
	v_add_co_ci_u32_e64 v1, s0, s9, v2, s0
	v_lshlrev_b32_e32 v2, 4, v102
	s_delay_alu instid0(VALU_DEP_3) | instskip(SKIP_1) | instid1(VALU_DEP_3)
	v_add_co_u32 v0, s0, v0, v3
	s_wait_alu 0xf1ff
	v_add_co_ci_u32_e64 v1, s0, v1, v4, s0
	s_delay_alu instid0(VALU_DEP_2) | instskip(SKIP_1) | instid1(VALU_DEP_2)
	v_add_co_u32 v24, s0, v0, v2
	s_wait_alu 0xf1ff
	v_add_co_ci_u32_e64 v25, s0, 0, v1, s0
	s_clause 0xd
	global_load_b128 v[0:3], v[24:25], off
	global_load_b128 v[4:7], v[24:25], off offset:896
	global_load_b128 v[32:35], v[24:25], off offset:7616
	;; [unrolled: 1-line block ×13, first 2 shown]
	v_cmpx_gt_u32_e32 28, v102
; %bb.13:
	s_clause 0x1
	global_load_b128 v[44:47], v[24:25], off offset:6272
	global_load_b128 v[60:63], v[24:25], off offset:12992
; %bb.14:
	s_wait_alu 0xfffe
	s_or_b32 exec_lo, exec_lo, s6
.LBB0_15:
	s_delay_alu instid0(SALU_CYCLE_1)
	s_or_b32 exec_lo, exec_lo, s1
	s_wait_loadcnt 0x3
	v_add_f64_e64 v[70:71], v[0:1], -v[64:65]
	s_wait_loadcnt 0x0
	v_add_f64_e64 v[26:27], v[44:45], -v[60:61]
	v_add_f64_e64 v[74:75], v[4:5], -v[32:33]
	;; [unrolled: 1-line block ×7, first 2 shown]
	v_add_nc_u32_e32 v104, 56, v102
	v_add_nc_u32_e32 v103, 0x70, v102
	;; [unrolled: 1-line block ×4, first 2 shown]
	v_cmp_gt_u32_e64 s0, 28, v102
	v_fma_f64 v[68:69], v[0:1], 2.0, -v[70:71]
	v_fma_f64 v[24:25], v[44:45], 2.0, -v[26:27]
	;; [unrolled: 1-line block ×8, first 2 shown]
	v_add_nc_u32_e32 v0, 0x118, v102
	v_add_nc_u32_e32 v1, 0x150, v102
	;; [unrolled: 1-line block ×3, first 2 shown]
	v_lshl_add_u32 v12, v102, 4, 0
	v_lshl_add_u32 v28, v104, 4, 0
	;; [unrolled: 1-line block ×8, first 2 shown]
	ds_store_b128 v12, v[68:71]
	ds_store_b128 v28, v[72:75]
	;; [unrolled: 1-line block ×7, first 2 shown]
	s_and_saveexec_b32 s1, s0
	s_cbranch_execz .LBB0_17
; %bb.16:
	ds_store_b128 v9, v[24:27]
.LBB0_17:
	s_wait_alu 0xfffe
	s_or_b32 exec_lo, exec_lo, s1
	v_lshl_add_u32 v105, v102, 3, 0
	global_wb scope:SCOPE_SE
	s_wait_dscnt 0x0
	s_wait_kmcnt 0x0
	s_barrier_signal -1
	s_barrier_wait -1
	global_inv scope:SCOPE_SE
	v_add_nc_u32_e32 v4, 0x800, v105
	v_add_nc_u32_e32 v5, 0xc00, v105
	v_add_nc_u32_e32 v29, 0x1000, v105
	v_add_nc_u32_e32 v32, 0x400, v105
	ds_load_2addr_b64 v[84:87], v105 offset1:56
	ds_load_2addr_b64 v[80:83], v4 offset0:80 offset1:164
	ds_load_2addr_b64 v[76:79], v5 offset0:92 offset1:148
	;; [unrolled: 1-line block ×6, first 2 shown]
	s_and_saveexec_b32 s1, s0
	s_cbranch_execz .LBB0_19
; %bb.18:
	ds_load_b64 v[24:25], v105 offset:3136
	ds_load_b64 v[26:27], v105 offset:6496
.LBB0_19:
	s_wait_alu 0xfffe
	s_or_b32 exec_lo, exec_lo, s1
	v_add_f64_e64 v[36:37], v[2:3], -v[66:67]
	v_add_f64_e64 v[4:5], v[46:47], -v[62:63]
	;; [unrolled: 1-line block ×8, first 2 shown]
	global_wb scope:SCOPE_SE
	s_wait_dscnt 0x0
	s_barrier_signal -1
	s_barrier_wait -1
	global_inv scope:SCOPE_SE
	v_fma_f64 v[34:35], v[2:3], 2.0, -v[36:37]
	v_fma_f64 v[2:3], v[46:47], 2.0, -v[4:5]
	;; [unrolled: 1-line block ×8, first 2 shown]
	ds_store_b128 v12, v[34:37]
	ds_store_b128 v28, v[38:41]
	;; [unrolled: 1-line block ×7, first 2 shown]
	s_and_saveexec_b32 s1, s0
	s_cbranch_execz .LBB0_21
; %bb.20:
	ds_store_b128 v9, v[2:5]
.LBB0_21:
	s_wait_alu 0xfffe
	s_or_b32 exec_lo, exec_lo, s1
	v_add_nc_u32_e32 v6, 0x800, v105
	v_add_nc_u32_e32 v7, 0xc00, v105
	;; [unrolled: 1-line block ×4, first 2 shown]
	global_wb scope:SCOPE_SE
	s_wait_dscnt 0x0
	s_barrier_signal -1
	s_barrier_wait -1
	global_inv scope:SCOPE_SE
	ds_load_2addr_b64 v[28:31], v105 offset1:56
	ds_load_2addr_b64 v[32:35], v6 offset0:80 offset1:164
	ds_load_2addr_b64 v[44:47], v7 offset0:92 offset1:148
	;; [unrolled: 1-line block ×6, first 2 shown]
	v_lshlrev_b32_e32 v112, 1, v102
	v_lshlrev_b32_e32 v111, 1, v104
	v_lshlrev_b32_e32 v110, 1, v103
	v_lshlrev_b32_e32 v109, 1, v101
	v_lshlrev_b32_e32 v108, 1, v100
	v_lshlrev_b32_e32 v107, 1, v0
	v_lshlrev_b32_e32 v106, 1, v1
	s_and_saveexec_b32 s1, s0
	s_cbranch_execz .LBB0_23
; %bb.22:
	ds_load_b64 v[2:3], v105 offset:3136
	ds_load_b64 v[4:5], v105 offset:6496
.LBB0_23:
	s_wait_alu 0xfffe
	s_or_b32 exec_lo, exec_lo, s1
	v_and_b32_e32 v113, 1, v102
	s_delay_alu instid0(VALU_DEP_1)
	v_lshlrev_b32_e32 v0, 4, v113
	v_and_or_b32 v23, 0xfc, v111, v113
	global_load_b128 v[56:59], v0, s[4:5]
	global_wb scope:SCOPE_SE
	s_wait_loadcnt_dscnt 0x0
	s_barrier_signal -1
	s_barrier_wait -1
	global_inv scope:SCOPE_SE
	v_mul_f64_e32 v[0:1], v[34:35], v[58:59]
	v_mul_f64_e32 v[13:14], v[50:51], v[58:59]
	;; [unrolled: 1-line block ×8, first 2 shown]
	v_fma_f64 v[0:1], v[82:83], v[56:57], -v[0:1]
	v_fma_f64 v[13:14], v[74:75], v[56:57], -v[13:14]
	;; [unrolled: 1-line block ×8, first 2 shown]
	v_add_f64_e64 v[21:22], v[84:85], -v[0:1]
	v_add_f64_e64 v[13:14], v[92:93], -v[13:14]
	;; [unrolled: 1-line block ×8, first 2 shown]
	v_fma_f64 v[19:20], v[84:85], 2.0, -v[21:22]
	v_fma_f64 v[66:67], v[92:93], 2.0, -v[13:14]
	;; [unrolled: 1-line block ×8, first 2 shown]
	v_lshlrev_b32_e32 v84, 1, v8
	v_and_or_b32 v8, 0x7c, v112, v113
	v_and_or_b32 v24, 0x1fc, v110, v113
	;; [unrolled: 1-line block ×6, first 2 shown]
	v_lshl_add_u32 v85, v8, 3, 0
	v_lshl_add_u32 v86, v23, 3, 0
	v_lshl_add_u32 v87, v24, 3, 0
	v_lshl_add_u32 v88, v25, 3, 0
	v_lshl_add_u32 v89, v89, 3, 0
	v_lshl_add_u32 v90, v90, 3, 0
	v_lshl_add_u32 v91, v91, 3, 0
	ds_store_2addr_b64 v85, v[19:20], v[21:22] offset1:2
	ds_store_2addr_b64 v86, v[60:61], v[6:7] offset1:2
	;; [unrolled: 1-line block ×7, first 2 shown]
	s_and_saveexec_b32 s1, s0
	s_cbranch_execz .LBB0_25
; %bb.24:
	v_and_or_b32 v6, 0x37c, v84, v113
	s_delay_alu instid0(VALU_DEP_1)
	v_lshl_add_u32 v6, v6, 3, 0
	ds_store_2addr_b64 v6, v[80:81], v[0:1] offset1:2
.LBB0_25:
	s_wait_alu 0xfffe
	s_or_b32 exec_lo, exec_lo, s1
	v_add_nc_u32_e32 v6, 0x800, v105
	v_add_nc_u32_e32 v7, 0xc00, v105
	;; [unrolled: 1-line block ×4, first 2 shown]
	global_wb scope:SCOPE_SE
	s_wait_dscnt 0x0
	s_barrier_signal -1
	s_barrier_wait -1
	global_inv scope:SCOPE_SE
	ds_load_2addr_b64 v[22:25], v105 offset1:56
	ds_load_2addr_b64 v[18:21], v6 offset0:80 offset1:164
	ds_load_2addr_b64 v[14:17], v7 offset0:92 offset1:148
	;; [unrolled: 1-line block ×6, first 2 shown]
	s_and_saveexec_b32 s1, s0
	s_cbranch_execz .LBB0_27
; %bb.26:
	ds_load_b64 v[80:81], v105 offset:3136
	ds_load_b64 v[0:1], v105 offset:6496
.LBB0_27:
	s_wait_alu 0xfffe
	s_or_b32 exec_lo, exec_lo, s1
	v_mul_f64_e32 v[82:83], v[82:83], v[58:59]
	v_mul_f64_e32 v[26:27], v[26:27], v[58:59]
	;; [unrolled: 1-line block ×8, first 2 shown]
	global_wb scope:SCOPE_SE
	s_wait_dscnt 0x0
	s_barrier_signal -1
	s_barrier_wait -1
	global_inv scope:SCOPE_SE
	v_fma_f64 v[34:35], v[34:35], v[56:57], v[82:83]
	v_fma_f64 v[4:5], v[4:5], v[56:57], v[26:27]
	;; [unrolled: 1-line block ×8, first 2 shown]
	v_add_f64_e64 v[26:27], v[28:29], -v[34:35]
	v_add_f64_e64 v[58:59], v[2:3], -v[4:5]
	;; [unrolled: 1-line block ×8, first 2 shown]
	v_fma_f64 v[28:29], v[28:29], 2.0, -v[26:27]
	v_fma_f64 v[4:5], v[2:3], 2.0, -v[58:59]
	;; [unrolled: 1-line block ×8, first 2 shown]
	ds_store_2addr_b64 v85, v[28:29], v[26:27] offset1:2
	ds_store_2addr_b64 v86, v[30:31], v[34:35] offset1:2
	;; [unrolled: 1-line block ×7, first 2 shown]
	s_and_saveexec_b32 s1, s0
	s_cbranch_execz .LBB0_29
; %bb.28:
	v_and_or_b32 v2, 0x37c, v84, v113
	s_delay_alu instid0(VALU_DEP_1)
	v_lshl_add_u32 v2, v2, 3, 0
	ds_store_2addr_b64 v2, v[4:5], v[58:59] offset1:2
.LBB0_29:
	s_wait_alu 0xfffe
	s_or_b32 exec_lo, exec_lo, s1
	v_add_nc_u32_e32 v2, 0x800, v105
	v_add_nc_u32_e32 v3, 0xc00, v105
	;; [unrolled: 1-line block ×4, first 2 shown]
	global_wb scope:SCOPE_SE
	s_wait_dscnt 0x0
	s_barrier_signal -1
	s_barrier_wait -1
	global_inv scope:SCOPE_SE
	ds_load_2addr_b64 v[26:29], v105 offset1:56
	ds_load_2addr_b64 v[30:33], v2 offset0:80 offset1:164
	ds_load_2addr_b64 v[42:45], v3 offset0:92 offset1:148
	;; [unrolled: 1-line block ×6, first 2 shown]
	s_and_saveexec_b32 s1, s0
	s_cbranch_execz .LBB0_31
; %bb.30:
	ds_load_b64 v[4:5], v105 offset:3136
	ds_load_b64 v[58:59], v105 offset:6496
.LBB0_31:
	s_wait_alu 0xfffe
	s_or_b32 exec_lo, exec_lo, s1
	v_and_b32_e32 v68, 3, v102
	s_delay_alu instid0(VALU_DEP_1)
	v_lshlrev_b32_e32 v2, 4, v68
	global_load_b128 v[54:57], v2, s[4:5] offset:32
	global_wb scope:SCOPE_SE
	s_wait_loadcnt_dscnt 0x0
	s_barrier_signal -1
	s_barrier_wait -1
	global_inv scope:SCOPE_SE
	v_mul_f64_e32 v[2:3], v[32:33], v[56:57]
	v_mul_f64_e32 v[69:70], v[42:43], v[56:57]
	;; [unrolled: 1-line block ×8, first 2 shown]
	v_fma_f64 v[2:3], v[20:21], v[54:55], -v[2:3]
	v_fma_f64 v[69:70], v[14:15], v[54:55], -v[69:70]
	;; [unrolled: 1-line block ×7, first 2 shown]
	v_add_f64_e64 v[87:88], v[22:23], -v[2:3]
	v_fma_f64 v[2:3], v[0:1], v[54:55], -v[85:86]
	v_add_f64_e64 v[69:70], v[24:25], -v[69:70]
	v_add_f64_e64 v[71:72], v[60:61], -v[71:72]
	;; [unrolled: 1-line block ×6, first 2 shown]
	v_fma_f64 v[85:86], v[22:23], 2.0, -v[87:88]
	v_add_f64_e64 v[2:3], v[80:81], -v[2:3]
	v_fma_f64 v[24:25], v[24:25], 2.0, -v[69:70]
	v_fma_f64 v[89:90], v[60:61], 2.0, -v[71:72]
	;; [unrolled: 1-line block ×6, first 2 shown]
	v_and_or_b32 v22, 0x78, v112, v68
	v_and_or_b32 v23, 0xf8, v111, v68
	;; [unrolled: 1-line block ×7, first 2 shown]
	v_lshl_add_u32 v22, v22, 3, 0
	v_lshl_add_u32 v23, v23, 3, 0
	;; [unrolled: 1-line block ×7, first 2 shown]
	ds_store_2addr_b64 v22, v[85:86], v[87:88] offset1:4
	ds_store_2addr_b64 v23, v[24:25], v[69:70] offset1:4
	;; [unrolled: 1-line block ×7, first 2 shown]
	s_and_saveexec_b32 s1, s0
	s_cbranch_execz .LBB0_33
; %bb.32:
	v_fma_f64 v[18:19], v[80:81], 2.0, -v[2:3]
	v_and_or_b32 v24, 0x378, v84, v68
	s_delay_alu instid0(VALU_DEP_1)
	v_lshl_add_u32 v24, v24, 3, 0
	ds_store_2addr_b64 v24, v[18:19], v[2:3] offset1:4
.LBB0_33:
	s_wait_alu 0xfffe
	s_or_b32 exec_lo, exec_lo, s1
	v_mul_f64_e32 v[18:19], v[20:21], v[56:57]
	v_mul_f64_e32 v[14:15], v[14:15], v[56:57]
	;; [unrolled: 1-line block ×8, first 2 shown]
	global_wb scope:SCOPE_SE
	s_wait_dscnt 0x0
	s_barrier_signal -1
	s_barrier_wait -1
	global_inv scope:SCOPE_SE
	v_fma_f64 v[18:19], v[32:33], v[54:55], v[18:19]
	v_fma_f64 v[14:15], v[42:43], v[54:55], v[14:15]
	;; [unrolled: 1-line block ×8, first 2 shown]
	v_add_nc_u32_e32 v48, 0x1000, v105
	v_add_nc_u32_e32 v49, 0x800, v105
	v_add_f64_e64 v[20:21], v[26:27], -v[18:19]
	v_add_f64_e64 v[42:43], v[28:29], -v[14:15]
	;; [unrolled: 1-line block ×8, first 2 shown]
	ds_load_2addr_b64 v[8:11], v105 offset1:56
	v_fma_f64 v[54:55], v[26:27], 2.0, -v[20:21]
	v_fma_f64 v[58:59], v[28:29], 2.0, -v[42:43]
	v_fma_f64 v[65:66], v[34:35], 2.0, -v[44:45]
	v_fma_f64 v[69:70], v[36:37], 2.0, -v[46:47]
	v_fma_f64 v[71:72], v[38:39], 2.0, -v[50:51]
	v_fma_f64 v[73:74], v[40:41], 2.0, -v[52:53]
	v_fma_f64 v[75:76], v[30:31], 2.0, -v[56:57]
	v_add_nc_u32_e32 v40, 0x400, v105
	ds_load_2addr_b64 v[12:15], v105 offset0:112 offset1:168
	ds_load_b64 v[0:1], v105 offset:6272
	ds_load_2addr_b64 v[16:19], v40 offset0:96 offset1:152
	ds_load_2addr_b64 v[36:39], v48 offset0:48 offset1:104
	;; [unrolled: 1-line block ×5, first 2 shown]
	global_wb scope:SCOPE_SE
	s_wait_dscnt 0x0
	s_barrier_signal -1
	s_barrier_wait -1
	global_inv scope:SCOPE_SE
	ds_store_2addr_b64 v22, v[54:55], v[20:21] offset1:4
	ds_store_2addr_b64 v23, v[58:59], v[42:43] offset1:4
	;; [unrolled: 1-line block ×7, first 2 shown]
	s_and_saveexec_b32 s1, s0
	s_cbranch_execz .LBB0_35
; %bb.34:
	v_fma_f64 v[4:5], v[4:5], 2.0, -v[6:7]
	v_and_or_b32 v20, 0x378, v84, v68
	s_delay_alu instid0(VALU_DEP_1)
	v_lshl_add_u32 v20, v20, 3, 0
	ds_store_2addr_b64 v20, v[4:5], v[6:7] offset1:4
.LBB0_35:
	s_wait_alu 0xfffe
	s_or_b32 exec_lo, exec_lo, s1
	v_and_b32_e32 v4, 7, v102
	global_wb scope:SCOPE_SE
	s_wait_dscnt 0x0
	s_barrier_signal -1
	s_barrier_wait -1
	global_inv scope:SCOPE_SE
	v_lshlrev_b32_e32 v5, 5, v4
	v_lshrrev_b32_e32 v47, 3, v104
	s_mov_b32 s0, 0xe8584caa
	s_mov_b32 s1, 0x3febb67a
	;; [unrolled: 1-line block ×3, first 2 shown]
	s_clause 0x1
	global_load_b128 v[41:44], v5, s[4:5] offset:96
	global_load_b128 v[50:53], v5, s[4:5] offset:112
	ds_load_2addr_b64 v[20:23], v40 offset0:96 offset1:152
	ds_load_2addr_b64 v[54:57], v48 offset0:48 offset1:104
	;; [unrolled: 1-line block ×5, first 2 shown]
	ds_load_b64 v[45:46], v105 offset:6272
	v_lshrrev_b32_e32 v5, 3, v102
	v_mul_u32_u24_e32 v47, 24, v47
	s_wait_alu 0xfffe
	s_mov_b32 s6, s0
	s_mov_b32 s9, 0xbfee6f0e
	;; [unrolled: 1-line block ×3, first 2 shown]
	v_mul_u32_u24_e32 v5, 24, v5
	v_or_b32_e32 v47, v47, v4
	s_mov_b32 s13, 0x3fe2cf23
	s_mov_b32 s15, 0xbfe2cf23
	;; [unrolled: 1-line block ×3, first 2 shown]
	v_or_b32_e32 v5, v5, v4
	v_lshl_add_u32 v47, v47, 3, 0
	s_mov_b32 s16, 0x372fe950
	s_mov_b32 s17, 0x3fd3c6ef
	s_wait_loadcnt_dscnt 0x105
	v_mul_f64_e32 v[70:71], v[22:23], v[43:44]
	s_wait_loadcnt_dscnt 0x4
	v_mul_f64_e32 v[72:73], v[54:55], v[52:53]
	s_wait_dscnt 0x3
	v_mul_f64_e32 v[74:75], v[58:59], v[43:44]
	v_mul_f64_e32 v[76:77], v[56:57], v[52:53]
	;; [unrolled: 1-line block ×3, first 2 shown]
	s_wait_dscnt 0x2
	v_mul_f64_e32 v[80:81], v[62:63], v[52:53]
	s_wait_dscnt 0x1
	v_mul_f64_e32 v[82:83], v[66:67], v[43:44]
	v_mul_f64_e32 v[84:85], v[64:65], v[52:53]
	;; [unrolled: 1-line block ×3, first 2 shown]
	s_wait_dscnt 0x0
	v_mul_f64_e32 v[88:89], v[45:46], v[52:53]
	v_mul_f64_e32 v[90:91], v[18:19], v[43:44]
	;; [unrolled: 1-line block ×11, first 2 shown]
	v_fma_f64 v[18:19], v[18:19], v[41:42], -v[70:71]
	v_fma_f64 v[36:37], v[36:37], v[50:51], -v[72:73]
	;; [unrolled: 1-line block ×10, first 2 shown]
	v_fma_f64 v[22:23], v[22:23], v[41:42], v[90:91]
	v_fma_f64 v[54:55], v[54:55], v[50:51], v[92:93]
	;; [unrolled: 1-line block ×10, first 2 shown]
	v_lshrrev_b32_e32 v80, 3, v103
	v_lshrrev_b32_e32 v81, 3, v101
	;; [unrolled: 1-line block ×3, first 2 shown]
	v_and_b32_e32 v83, 0xff, v102
	ds_load_2addr_b64 v[24:27], v105 offset1:56
	ds_load_2addr_b64 v[28:31], v105 offset0:112 offset1:168
	v_mul_u32_u24_e32 v112, 24, v80
	v_mul_u32_u24_e32 v113, 24, v81
	v_mul_u32_u24_e32 v114, 24, v82
	v_mul_lo_u16 v115, 0xab, v83
	v_and_b32_e32 v84, 0xff, v104
	v_and_b32_e32 v85, 0xff, v103
	v_or_b32_e32 v112, v112, v4
	v_or_b32_e32 v113, v113, v4
	;; [unrolled: 1-line block ×3, first 2 shown]
	v_mul_lo_u16 v116, 0xab, v84
	v_mul_lo_u16 v117, 0xab, v85
	v_lshrrev_b16 v154, 12, v115
	global_wb scope:SCOPE_SE
	s_wait_dscnt 0x0
	v_add_f64_e32 v[84:85], v[8:9], v[18:19]
	v_add_f64_e32 v[45:46], v[18:19], v[36:37]
	;; [unrolled: 1-line block ×10, first 2 shown]
	v_lshrrev_b16 v155, 12, v116
	v_add_f64_e32 v[80:81], v[22:23], v[54:55]
	v_add_f64_e64 v[88:89], v[22:23], -v[54:55]
	v_add_f64_e32 v[82:83], v[58:59], v[56:57]
	v_add_f64_e64 v[110:111], v[58:59], -v[56:57]
	v_add_f64_e32 v[86:87], v[60:61], v[62:63]
	v_lshl_add_u32 v116, v5, 3, 0
	v_add_f64_e32 v[90:91], v[66:67], v[64:65]
	v_add_f64_e32 v[4:5], v[24:25], v[22:23]
	;; [unrolled: 1-line block ×5, first 2 shown]
	v_add_f64_e64 v[32:33], v[32:33], -v[38:39]
	v_add_f64_e64 v[34:35], v[34:35], -v[70:71]
	v_mul_lo_u16 v115, v154, 24
	s_barrier_signal -1
	s_barrier_wait -1
	global_inv scope:SCOPE_SE
	v_fma_f64 v[45:46], v[45:46], -0.5, v[8:9]
	v_lshrrev_b16 v8, 12, v117
	v_fma_f64 v[9:10], v[50:51], -0.5, v[10:11]
	v_add_f64_e64 v[50:51], v[60:61], -v[62:63]
	v_fma_f64 v[11:12], v[52:53], -0.5, v[12:13]
	v_add_f64_e64 v[52:53], v[66:67], -v[64:65]
	;; [unrolled: 2-line block ×4, first 2 shown]
	v_fma_f64 v[24:25], v[80:81], -0.5, v[24:25]
	v_add_f64_e32 v[60:61], v[30:31], v[66:67]
	v_fma_f64 v[26:27], v[82:83], -0.5, v[26:27]
	v_add_f64_e64 v[66:67], v[72:73], -v[74:75]
	v_fma_f64 v[28:29], v[86:87], -0.5, v[28:29]
	v_add_f64_e32 v[41:42], v[20:21], v[41:42]
	v_fma_f64 v[30:31], v[90:91], -0.5, v[30:31]
	v_add_f64_e64 v[72:73], v[76:77], -v[0:1]
	v_fma_f64 v[19:20], v[94:95], -0.5, v[20:21]
	v_mul_lo_u16 v117, v155, 24
	v_add_f64_e32 v[36:37], v[84:85], v[36:37]
	v_add_f64_e32 v[4:5], v[4:5], v[54:55]
	;; [unrolled: 1-line block ×8, first 2 shown]
	v_mul_lo_u16 v21, v8, 24
	v_lshl_add_u32 v86, v112, 3, 0
	v_lshl_add_u32 v87, v113, 3, 0
	v_and_b32_e32 v8, 0xffff, v8
	s_delay_alu instid0(VALU_DEP_4) | instskip(NEXT) | instid1(VALU_DEP_2)
	v_sub_nc_u16 v21, v103, v21
	v_mul_u32_u24_e32 v8, 0x3c0, v8
	s_delay_alu instid0(VALU_DEP_2)
	v_and_b32_e32 v158, 0xff, v21
	v_fma_f64 v[76:77], v[88:89], s[0:1], v[45:46]
	s_wait_alu 0xfffe
	v_fma_f64 v[45:46], v[88:89], s[6:7], v[45:46]
	v_fma_f64 v[78:79], v[110:111], s[0:1], v[9:10]
	;; [unrolled: 1-line block ×8, first 2 shown]
	v_sub_nc_u16 v68, v102, v115
	v_sub_nc_u16 v69, v104, v117
	v_fma_f64 v[62:63], v[17:18], s[6:7], v[24:25]
	v_fma_f64 v[17:18], v[17:18], s[0:1], v[24:25]
	v_add_f64_e32 v[58:59], v[60:61], v[64:65]
	v_fma_f64 v[64:65], v[32:33], s[6:7], v[26:27]
	v_fma_f64 v[9:10], v[110:111], s[6:7], v[9:10]
	v_and_b32_e32 v156, 0xff, v68
	v_and_b32_e32 v157, 0xff, v69
	v_fma_f64 v[68:69], v[32:33], s[0:1], v[26:27]
	v_fma_f64 v[82:83], v[34:35], s[6:7], v[28:29]
	;; [unrolled: 1-line block ×5, first 2 shown]
	v_add_f64_e32 v[60:61], v[41:42], v[43:44]
	v_fma_f64 v[66:67], v[72:73], s[6:7], v[19:20]
	v_fma_f64 v[72:73], v[72:73], s[0:1], v[19:20]
	v_lshlrev_b32_e32 v19, 6, v156
	v_lshlrev_b32_e32 v89, 6, v157
	v_lshl_add_u32 v88, v114, 3, 0
	s_mov_b32 s6, 0x134454ff
	s_mov_b32 s7, 0x3fee6f0e
	s_wait_alu 0xfffe
	s_mov_b32 s8, s6
	v_cmp_gt_u32_e64 s0, 8, v102
	ds_store_2addr_b64 v116, v[36:37], v[76:77] offset1:8
	ds_store_b64 v116, v[45:46] offset:128
	ds_store_2addr_b64 v47, v[38:39], v[78:79] offset1:8
	ds_store_b64 v47, v[9:10] offset:128
	ds_store_2addr_b64 v86, v[70:71], v[80:81] offset1:8
	ds_store_b64 v86, v[11:12] offset:128
	ds_store_2addr_b64 v87, v[74:75], v[50:51] offset1:8
	ds_store_b64 v87, v[13:14] offset:128
	ds_store_2addr_b64 v88, v[0:1], v[52:53] offset1:8
	ds_store_b64 v88, v[15:16] offset:128
	global_wb scope:SCOPE_SE
	s_wait_dscnt 0x0
	s_barrier_signal -1
	s_barrier_wait -1
	global_inv scope:SCOPE_SE
	ds_load_2addr_b64 v[9:12], v105 offset1:56
	ds_load_2addr_b64 v[20:23], v105 offset0:112 offset1:168
	ds_load_2addr_b64 v[24:27], v49 offset0:80 offset1:136
	;; [unrolled: 1-line block ×6, first 2 shown]
	ds_load_b64 v[0:1], v105 offset:6272
	global_wb scope:SCOPE_SE
	s_wait_dscnt 0x0
	s_barrier_signal -1
	s_barrier_wait -1
	global_inv scope:SCOPE_SE
	ds_store_2addr_b64 v116, v[4:5], v[62:63] offset1:8
	ds_store_b64 v116, v[17:18] offset:128
	ds_store_2addr_b64 v47, v[54:55], v[64:65] offset1:8
	ds_store_b64 v47, v[68:69] offset:128
	;; [unrolled: 2-line block ×5, first 2 shown]
	global_wb scope:SCOPE_SE
	s_wait_dscnt 0x0
	s_barrier_signal -1
	s_barrier_wait -1
	global_inv scope:SCOPE_SE
	s_clause 0x1
	global_load_b128 v[28:31], v19, s[4:5] offset:368
	global_load_b128 v[54:57], v89, s[4:5] offset:368
	v_lshlrev_b32_e32 v4, 6, v158
	s_clause 0x9
	global_load_b128 v[64:67], v19, s[4:5] offset:400
	global_load_b128 v[72:75], v19, s[4:5] offset:384
	;; [unrolled: 1-line block ×10, first 2 shown]
	ds_load_2addr_b64 v[68:71], v49 offset0:80 offset1:136
	ds_load_2addr_b64 v[130:133], v48 offset0:160 offset1:216
	;; [unrolled: 1-line block ×6, first 2 shown]
	ds_load_b64 v[13:14], v105 offset:6272
	v_lshlrev_b32_e32 v15, 3, v156
	s_wait_loadcnt_dscnt 0x905
	v_mul_f64_e32 v[58:59], v[130:131], v[66:67]
	s_wait_loadcnt_dscnt 0x804
	v_mul_f64_e32 v[62:63], v[136:137], v[74:75]
	s_wait_loadcnt 0x7
	v_mul_f64_e32 v[84:85], v[132:133], v[78:79]
	s_wait_loadcnt_dscnt 0x603
	v_mul_f64_e32 v[86:87], v[18:19], v[82:83]
	s_wait_loadcnt_dscnt 0x502
	;; [unrolled: 2-line block ×3, first 2 shown]
	v_mul_f64_e32 v[90:91], v[142:143], v[112:113]
	v_mul_f64_e32 v[4:5], v[68:69], v[30:31]
	;; [unrolled: 1-line block ×3, first 2 shown]
	s_wait_loadcnt 0x2
	v_mul_f64_e32 v[94:95], v[134:135], v[120:121]
	s_wait_loadcnt 0x1
	v_mul_f64_e32 v[100:101], v[140:141], v[124:125]
	v_mul_f64_e32 v[92:93], v[144:145], v[116:117]
	s_wait_loadcnt_dscnt 0x0
	v_mul_f64_e32 v[146:147], v[13:14], v[128:129]
	v_mul_f64_e32 v[148:149], v[24:25], v[30:31]
	;; [unrolled: 1-line block ×10, first 2 shown]
	v_fma_f64 v[60:61], v[36:37], v[64:65], -v[58:59]
	v_fma_f64 v[58:59], v[34:35], v[72:73], -v[62:63]
	v_fma_f64 v[56:57], v[38:39], v[76:77], -v[84:85]
	v_fma_f64 v[62:63], v[22:23], v[80:81], -v[86:87]
	v_fma_f64 v[84:85], v[50:51], v[106:107], -v[88:89]
	v_mul_f64_e32 v[34:35], v[0:1], v[128:129]
	v_fma_f64 v[30:31], v[24:25], v[28:29], -v[4:5]
	v_fma_f64 v[4:5], v[26:27], v[54:55], -v[45:46]
	v_mul_f64_e32 v[24:25], v[32:33], v[120:121]
	v_fma_f64 v[90:91], v[41:42], v[110:111], -v[90:91]
	v_mul_f64_e32 v[26:27], v[52:53], v[124:125]
	v_fma_f64 v[78:79], v[32:33], v[118:119], -v[94:95]
	v_fma_f64 v[88:89], v[52:53], v[122:123], -v[100:101]
	;; [unrolled: 1-line block ×4, first 2 shown]
	v_fma_f64 v[22:23], v[130:131], v[64:65], v[66:67]
	v_fma_f64 v[82:83], v[18:19], v[80:81], v[82:83]
	v_fma_f64 v[68:69], v[68:69], v[28:29], v[148:149]
	v_fma_f64 v[64:65], v[136:137], v[72:73], v[74:75]
	v_fma_f64 v[28:29], v[132:133], v[76:77], v[152:153]
	v_fma_f64 v[76:77], v[142:143], v[110:111], v[112:113]
	v_fma_f64 v[70:71], v[70:71], v[54:55], v[150:151]
	v_fma_f64 v[66:67], v[138:139], v[106:107], v[108:109]
	v_fma_f64 v[74:75], v[144:145], v[114:115], v[116:117]
	v_add_f64_e64 v[52:53], v[60:61], -v[58:59]
	v_add_f64_e64 v[80:81], v[58:59], -v[60:61]
	v_add_f64_e32 v[18:19], v[62:63], v[60:61]
	v_add_f64_e32 v[38:39], v[9:10], v[62:63]
	v_fma_f64 v[94:95], v[13:14], v[126:127], v[34:35]
	v_add_f64_e32 v[0:1], v[30:31], v[58:59]
	v_add_f64_e64 v[54:55], v[30:31], -v[62:63]
	v_fma_f64 v[72:73], v[134:135], v[118:119], v[24:25]
	v_add_f64_e32 v[24:25], v[4:5], v[84:85]
	v_add_f64_e32 v[13:14], v[90:91], v[56:57]
	v_fma_f64 v[100:101], v[140:141], v[122:123], v[26:27]
	v_add_f64_e32 v[26:27], v[78:79], v[88:89]
	v_add_f64_e32 v[41:42], v[11:12], v[90:91]
	;; [unrolled: 1-line block ×4, first 2 shown]
	v_add_f64_e64 v[34:35], v[82:83], -v[22:23]
	v_add_f64_e64 v[110:111], v[4:5], -v[90:91]
	;; [unrolled: 1-line block ×11, first 2 shown]
	v_add_f64_e32 v[38:39], v[38:39], v[30:31]
	v_add_f64_e64 v[50:51], v[74:75], -v[94:95]
	v_fma_f64 v[0:1], v[0:1], -0.5, v[9:10]
	v_fma_f64 v[9:10], v[18:19], -0.5, v[9:10]
	v_add_f64_e64 v[18:19], v[70:71], -v[66:67]
	v_fma_f64 v[24:25], v[24:25], -0.5, v[11:12]
	v_fma_f64 v[11:12], v[13:14], -0.5, v[11:12]
	v_add_f64_e64 v[13:14], v[72:73], -v[100:101]
	v_fma_f64 v[26:27], v[26:27], -0.5, v[20:21]
	v_add_f64_e32 v[41:42], v[41:42], v[4:5]
	v_fma_f64 v[20:21], v[32:33], -0.5, v[20:21]
	v_add_f64_e64 v[32:33], v[62:63], -v[30:31]
	v_add_f64_e32 v[43:44], v[43:44], v[78:79]
	v_add_f64_e32 v[38:39], v[38:39], v[58:59]
	v_fma_f64 v[122:123], v[34:35], s[6:7], v[0:1]
	s_wait_alu 0xfffe
	v_fma_f64 v[0:1], v[34:35], s[8:9], v[0:1]
	v_fma_f64 v[124:125], v[36:37], s[8:9], v[9:10]
	;; [unrolled: 1-line block ×11, first 2 shown]
	v_add_f64_e32 v[32:33], v[32:33], v[52:53]
	v_add_f64_e32 v[52:53], v[54:55], v[80:81]
	;; [unrolled: 1-line block ×8, first 2 shown]
	v_fma_f64 v[110:111], v[36:37], s[12:13], v[122:123]
	v_fma_f64 v[0:1], v[36:37], s[14:15], v[0:1]
	v_fma_f64 v[36:37], v[34:35], s[12:13], v[124:125]
	v_fma_f64 v[9:10], v[34:35], s[14:15], v[9:10]
	v_fma_f64 v[34:35], v[18:19], s[12:13], v[126:127]
	v_fma_f64 v[18:19], v[18:19], s[14:15], v[24:25]
	v_fma_f64 v[24:25], v[45:46], s[12:13], v[128:129]
	v_fma_f64 v[11:12], v[45:46], s[14:15], v[11:12]
	v_fma_f64 v[45:46], v[13:14], s[12:13], v[130:131]
	v_fma_f64 v[112:113], v[50:51], s[12:13], v[132:133]
	v_fma_f64 v[20:21], v[50:51], s[14:15], v[20:21]
	v_fma_f64 v[13:14], v[13:14], s[14:15], v[26:27]
	v_add_f64_e32 v[26:27], v[38:39], v[60:61]
	v_add_f64_e32 v[38:39], v[41:42], v[56:57]
	;; [unrolled: 1-line block ×3, first 2 shown]
	v_fma_f64 v[43:44], v[32:33], s[16:17], v[110:111]
	v_fma_f64 v[32:33], v[32:33], s[16:17], v[0:1]
	;; [unrolled: 1-line block ×12, first 2 shown]
	v_and_b32_e32 v13, 0xffff, v154
	v_and_b32_e32 v14, 0xffff, v155
	v_lshlrev_b32_e32 v18, 3, v157
	v_lshlrev_b32_e32 v19, 3, v158
	v_add_nc_u32_e32 v106, 0xc00, v105
	v_mul_u32_u24_e32 v13, 0x3c0, v13
	v_mul_u32_u24_e32 v14, 0x3c0, v14
	v_add_nc_u32_e32 v107, 0x1400, v105
	v_add3_u32 v108, 0, v8, v19
                                        ; implicit-def: $vgpr80_vgpr81
	s_delay_alu instid0(VALU_DEP_4) | instskip(NEXT) | instid1(VALU_DEP_4)
	v_add3_u32 v110, 0, v13, v15
	v_add3_u32 v109, 0, v14, v18
	ds_load_2addr_b64 v[18:21], v105 offset1:56
	global_wb scope:SCOPE_SE
	s_wait_dscnt 0x0
	s_barrier_signal -1
	s_barrier_wait -1
	global_inv scope:SCOPE_SE
	ds_store_2addr_b64 v110, v[26:27], v[43:44] offset1:24
	ds_store_2addr_b64 v110, v[36:37], v[9:10] offset0:48 offset1:72
	ds_store_b64 v110, v[32:33] offset:768
	ds_store_2addr_b64 v109, v[38:39], v[34:35] offset1:24
	ds_store_2addr_b64 v109, v[24:25], v[11:12] offset0:48 offset1:72
	ds_store_b64 v109, v[50:51] offset:768
	ds_store_2addr_b64 v108, v[41:42], v[45:46] offset1:24
	ds_store_2addr_b64 v108, v[52:53], v[54:55] offset0:48 offset1:72
	ds_store_b64 v108, v[0:1] offset:768
	global_wb scope:SCOPE_SE
	s_wait_dscnt 0x0
	s_barrier_signal -1
	s_barrier_wait -1
	global_inv scope:SCOPE_SE
	ds_load_2addr_b64 v[24:27], v105 offset1:56
	ds_load_2addr_b64 v[44:47], v105 offset0:120 offset1:176
	ds_load_2addr_b64 v[40:43], v40 offset0:112 offset1:168
	;; [unrolled: 1-line block ×6, first 2 shown]
                                        ; implicit-def: $vgpr10_vgpr11
                                        ; implicit-def: $vgpr14_vgpr15
	s_and_saveexec_b32 s1, s0
	s_cbranch_execz .LBB0_37
; %bb.36:
	v_add_nc_u32_e32 v8, 0x800, v105
	v_add_nc_u32_e32 v9, 0x1000, v105
	ds_load_2addr_b64 v[0:3], v105 offset0:112 offset1:232
	ds_load_2addr_b64 v[12:15], v8 offset0:96 offset1:216
	;; [unrolled: 1-line block ×3, first 2 shown]
	ds_load_b64 v[80:81], v105 offset:6656
.LBB0_37:
	s_wait_alu 0xfffe
	s_or_b32 exec_lo, exec_lo, s1
	v_add_f64_e32 v[111:112], v[68:69], v[64:65]
	v_add_f64_e32 v[113:114], v[82:83], v[22:23]
	;; [unrolled: 1-line block ×7, first 2 shown]
	v_add_f64_e64 v[60:61], v[62:63], -v[60:61]
	v_add_f64_e64 v[30:31], v[30:31], -v[58:59]
	v_add_f64_e32 v[58:59], v[20:21], v[76:77]
	v_add_f64_e32 v[62:63], v[16:17], v[74:75]
	v_add_f64_e64 v[56:57], v[90:91], -v[56:57]
	v_add_f64_e64 v[4:5], v[4:5], -v[84:85]
	;; [unrolled: 1-line block ×9, first 2 shown]
	global_wb scope:SCOPE_SE
	s_wait_dscnt 0x0
	s_barrier_signal -1
	s_barrier_wait -1
	global_inv scope:SCOPE_SE
	v_fma_f64 v[111:112], v[111:112], -0.5, v[18:19]
	v_fma_f64 v[18:19], v[113:114], -0.5, v[18:19]
	;; [unrolled: 1-line block ×6, first 2 shown]
	v_add_f64_e64 v[115:116], v[76:77], -v[70:71]
	v_add_f64_e64 v[76:77], v[70:71], -v[76:77]
	v_add_f64_e32 v[68:69], v[123:124], v[68:69]
	v_add_f64_e32 v[58:59], v[58:59], v[70:71]
	;; [unrolled: 1-line block ×3, first 2 shown]
	v_add_f64_e64 v[113:114], v[64:65], -v[22:23]
	v_add_f64_e64 v[121:122], v[74:75], -v[72:73]
	;; [unrolled: 1-line block ×5, first 2 shown]
	v_add_f64_e32 v[90:91], v[90:91], v[92:93]
	v_fma_f64 v[70:71], v[60:61], s[8:9], v[111:112]
	v_fma_f64 v[72:73], v[60:61], s[6:7], v[111:112]
	;; [unrolled: 1-line block ×12, first 2 shown]
	v_add_f64_e32 v[64:65], v[68:69], v[64:65]
	v_add_f64_e32 v[58:59], v[58:59], v[66:67]
	;; [unrolled: 1-line block ×8, first 2 shown]
	v_fma_f64 v[66:67], v[30:31], s[14:15], v[70:71]
	v_fma_f64 v[30:31], v[30:31], s[12:13], v[72:73]
	;; [unrolled: 1-line block ×12, first 2 shown]
	v_add_f64_e32 v[22:23], v[64:65], v[22:23]
	v_add_f64_e32 v[28:29], v[58:59], v[28:29]
	;; [unrolled: 1-line block ×3, first 2 shown]
	v_fma_f64 v[62:63], v[90:91], s[16:17], v[66:67]
	v_fma_f64 v[30:31], v[90:91], s[16:17], v[30:31]
	;; [unrolled: 1-line block ×12, first 2 shown]
	v_add_nc_u32_e32 v74, 0x400, v105
	v_add_nc_u32_e32 v16, 0x800, v105
	v_add_nc_u32_e32 v17, 0x1000, v105
                                        ; implicit-def: $vgpr82_vgpr83
	ds_store_2addr_b64 v110, v[22:23], v[62:63] offset1:24
	ds_store_2addr_b64 v110, v[64:65], v[18:19] offset0:48 offset1:72
	ds_store_b64 v110, v[30:31] offset:768
	ds_store_2addr_b64 v109, v[28:29], v[60:61] offset1:24
	ds_store_2addr_b64 v109, v[68:69], v[20:21] offset0:48 offset1:72
	ds_store_b64 v109, v[66:67] offset:768
	;; [unrolled: 3-line block ×3, first 2 shown]
	global_wb scope:SCOPE_SE
	s_wait_dscnt 0x0
	s_barrier_signal -1
	s_barrier_wait -1
	global_inv scope:SCOPE_SE
	ds_load_2addr_b64 v[28:31], v105 offset1:56
	ds_load_2addr_b64 v[68:71], v105 offset0:120 offset1:176
	ds_load_2addr_b64 v[64:67], v74 offset0:112 offset1:168
	;; [unrolled: 1-line block ×6, first 2 shown]
                                        ; implicit-def: $vgpr18_vgpr19
                                        ; implicit-def: $vgpr22_vgpr23
	s_and_saveexec_b32 s1, s0
	s_cbranch_execz .LBB0_39
; %bb.38:
	ds_load_2addr_b64 v[4:7], v105 offset0:112 offset1:232
	ds_load_2addr_b64 v[20:23], v16 offset0:96 offset1:216
	;; [unrolled: 1-line block ×3, first 2 shown]
	ds_load_b64 v[82:83], v105 offset:6656
.LBB0_39:
	s_wait_alu 0xfffe
	s_or_b32 exec_lo, exec_lo, s1
	s_and_saveexec_b32 s1, vcc_lo
	s_cbranch_execz .LBB0_42
; %bb.40:
	v_mul_u32_u24_e32 v84, 6, v104
	v_mul_u32_u24_e32 v92, 6, v102
	s_mov_b32 s18, 0xe976ee23
	s_mov_b32 s20, 0x37e14327
	;; [unrolled: 1-line block ×3, first 2 shown]
	v_lshlrev_b32_e32 v100, 4, v84
	v_lshlrev_b32_e32 v101, 4, v92
	s_mov_b32 s14, 0x429ad128
	s_mov_b32 s19, 0xbfe11646
	;; [unrolled: 1-line block ×3, first 2 shown]
	s_clause 0xb
	global_load_b128 v[84:87], v100, s[4:5] offset:1968
	global_load_b128 v[88:91], v100, s[4:5] offset:1888
	;; [unrolled: 1-line block ×12, first 2 shown]
	s_mov_b32 s13, 0x3fac98ee
	s_mov_b32 s15, 0x3febfeb5
	s_mov_b32 s8, 0xb247c609
	s_mov_b32 s6, 0xaaaaaaaa
	s_mov_b32 s22, 0x5476071b
	s_mov_b32 s9, 0x3fd5d0dc
	s_mov_b32 s7, 0xbff2aaaa
	s_mov_b32 s17, 0xbfd5d0dc
	s_mov_b32 s23, 0xbfe77f67
	s_mov_b32 s25, 0x3fe77f67
	s_wait_alu 0xfffe
	s_mov_b32 s16, s8
	s_mov_b32 s24, s22
	v_lshlrev_b64_e32 v[96:97], 4, v[96:97]
	s_wait_loadcnt 0x9
	v_mul_f64_e32 v[142:143], v[50:51], v[94:95]
	s_wait_loadcnt 0x8
	v_mul_f64_e32 v[144:145], v[42:43], v[106:107]
	s_wait_dscnt 0x1
	v_mul_f64_e32 v[94:95], v[74:75], v[94:95]
	v_mul_f64_e32 v[106:107], v[66:67], v[106:107]
	s_wait_loadcnt 0x7
	v_mul_f64_e32 v[146:147], v[52:53], v[110:111]
	s_wait_loadcnt 0x6
	;; [unrolled: 2-line block ×3, first 2 shown]
	v_mul_f64_e32 v[150:151], v[48:49], v[118:119]
	s_wait_dscnt 0x0
	v_mul_f64_e32 v[100:101], v[78:79], v[86:87]
	v_mul_f64_e32 v[86:87], v[54:55], v[86:87]
	;; [unrolled: 1-line block ×4, first 2 shown]
	s_wait_loadcnt 0x4
	v_mul_f64_e32 v[152:153], v[40:41], v[122:123]
	v_mul_f64_e32 v[114:115], v[68:69], v[114:115]
	;; [unrolled: 1-line block ×5, first 2 shown]
	s_wait_loadcnt 0x3
	v_mul_f64_e32 v[154:155], v[62:63], v[126:127]
	s_wait_loadcnt 0x2
	v_mul_f64_e32 v[156:157], v[58:59], v[130:131]
	v_mul_f64_e32 v[130:131], v[34:35], v[130:131]
	;; [unrolled: 1-line block ×3, first 2 shown]
	s_wait_loadcnt 0x1
	v_mul_f64_e32 v[158:159], v[60:61], v[134:135]
	s_wait_loadcnt 0x0
	v_mul_f64_e32 v[160:161], v[56:57], v[138:139]
	v_mul_f64_e32 v[138:139], v[32:33], v[138:139]
	v_fma_f64 v[74:75], v[74:75], v[92:93], v[142:143]
	v_fma_f64 v[66:67], v[66:67], v[104:105], v[144:145]
	v_fma_f64 v[50:51], v[50:51], v[92:93], -v[94:95]
	v_fma_f64 v[42:43], v[42:43], v[104:105], -v[106:107]
	v_fma_f64 v[76:77], v[76:77], v[108:109], v[146:147]
	v_fma_f64 v[68:69], v[68:69], v[112:113], v[148:149]
	;; [unrolled: 1-line block ×3, first 2 shown]
	v_fma_f64 v[54:55], v[54:55], v[84:85], -v[100:101]
	v_fma_f64 v[78:79], v[78:79], v[84:85], v[86:87]
	v_fma_f64 v[46:47], v[46:47], v[88:89], -v[140:141]
	v_fma_f64 v[70:71], v[70:71], v[88:89], v[90:91]
	v_mul_f64_e32 v[84:85], v[36:37], v[134:135]
	v_fma_f64 v[64:65], v[64:65], v[120:121], v[152:153]
	v_fma_f64 v[44:45], v[44:45], v[112:113], -v[114:115]
	v_fma_f64 v[52:53], v[52:53], v[108:109], -v[110:111]
	v_fma_f64 v[40:41], v[40:41], v[120:121], -v[122:123]
	v_fma_f64 v[48:49], v[48:49], v[116:117], -v[118:119]
	v_fma_f64 v[38:39], v[38:39], v[124:125], -v[154:155]
	v_fma_f64 v[34:35], v[34:35], v[128:129], -v[156:157]
	v_fma_f64 v[58:59], v[58:59], v[128:129], v[130:131]
	v_fma_f64 v[62:63], v[62:63], v[124:125], v[126:127]
	v_fma_f64 v[36:37], v[36:37], v[132:133], -v[158:159]
	v_fma_f64 v[32:33], v[32:33], v[136:137], -v[160:161]
	v_fma_f64 v[56:57], v[56:57], v[136:137], v[138:139]
	v_add_nc_u32_e32 v134, 56, v102
	v_add_f64_e32 v[88:89], v[66:67], v[74:75]
	v_add_f64_e32 v[92:93], v[42:43], v[50:51]
	v_add_f64_e64 v[42:43], v[42:43], -v[50:51]
	v_add_f64_e32 v[90:91], v[46:47], v[54:55]
	v_add_f64_e32 v[86:87], v[70:71], v[78:79]
	v_fma_f64 v[60:61], v[60:61], v[132:133], v[84:85]
	v_add_f64_e32 v[84:85], v[68:69], v[76:77]
	v_add_f64_e32 v[94:95], v[64:65], v[72:73]
	;; [unrolled: 1-line block ×3, first 2 shown]
	v_add_f64_e64 v[46:47], v[46:47], -v[54:55]
	v_add_f64_e32 v[104:105], v[40:41], v[48:49]
	v_add_f64_e64 v[40:41], v[40:41], -v[48:49]
	v_add_f64_e64 v[106:107], v[38:39], -v[34:35]
	v_add_f64_e32 v[34:35], v[38:39], v[34:35]
	v_add_f64_e32 v[50:51], v[62:63], v[58:59]
	v_add_f64_e64 v[38:39], v[62:63], -v[58:59]
	v_add_f64_e64 v[58:59], v[66:67], -v[74:75]
	;; [unrolled: 1-line block ×4, first 2 shown]
	v_add_f64_e32 v[32:33], v[36:37], v[32:33]
	v_add_f64_e64 v[70:71], v[70:71], -v[78:79]
	v_mul_lo_u32 v132, s3, v98
	v_mul_lo_u32 v133, s2, v99
	v_add_f64_e32 v[62:63], v[90:91], v[92:93]
	v_add_f64_e32 v[48:49], v[86:87], v[88:89]
	;; [unrolled: 1-line block ×3, first 2 shown]
	v_add_f64_e64 v[56:57], v[60:61], -v[56:57]
	v_add_f64_e32 v[36:37], v[84:85], v[94:95]
	v_add_f64_e64 v[60:61], v[64:65], -v[72:73]
	v_add_f64_e64 v[64:65], v[68:69], -v[76:77]
	v_add_f64_e32 v[66:67], v[100:101], v[104:105]
	v_mad_co_u64_u32 v[68:69], null, s2, v98, 0
	v_add_f64_e64 v[72:73], v[106:107], -v[42:43]
	v_add_f64_e64 v[74:75], v[50:51], -v[88:89]
	;; [unrolled: 1-line block ×12, first 2 shown]
	v_add_f64_e32 v[42:43], v[106:107], v[42:43]
	v_add_f64_e64 v[106:107], v[70:71], -v[38:39]
	v_add_f64_e32 v[38:39], v[38:39], v[58:59]
	v_add_f64_e64 v[58:59], v[88:89], -v[86:87]
	v_add_f64_e64 v[100:101], v[104:105], -v[100:101]
	;; [unrolled: 1-line block ×3, first 2 shown]
	v_add3_u32 v69, v69, v133, v132
	s_mov_b32 s2, 0x37c3f68c
	s_mov_b32 s3, 0x3fdc38aa
	s_delay_alu instid0(VALU_DEP_1)
	v_lshlrev_b64_e32 v[68:69], 4, v[68:69]
	v_add_f64_e32 v[48:49], v[50:51], v[48:49]
	v_add_f64_e32 v[50:51], v[34:35], v[62:63]
	v_add_f64_e64 v[62:63], v[40:41], -v[44:45]
	v_add_f64_e64 v[112:113], v[52:53], -v[94:95]
	;; [unrolled: 1-line block ×3, first 2 shown]
	v_add_f64_e32 v[52:53], v[52:53], v[36:37]
	v_add_f64_e64 v[118:119], v[56:57], -v[60:61]
	v_add_f64_e32 v[66:67], v[32:33], v[66:67]
	v_mov_b32_e32 v32, 0
	v_add_f64_e64 v[120:121], v[60:61], -v[64:65]
	v_mul_hi_u32 v36, 0x88888889, v102
	v_mul_hi_u32 v34, 0x88888889, v134
	v_add_f64_e32 v[40:41], v[54:55], v[40:41]
	v_add_f64_e32 v[60:61], v[56:57], v[60:61]
	v_mul_f64_e32 v[72:73], s[18:19], v[72:73]
	v_mul_f64_e32 v[74:75], s[12:13], v[74:75]
	;; [unrolled: 1-line block ×4, first 2 shown]
	v_lshrrev_b32_e32 v135, 6, v36
	v_mul_f64_e32 v[88:89], s[20:21], v[108:109]
	v_lshrrev_b32_e32 v136, 6, v34
	v_add_f64_e64 v[54:55], v[44:45], -v[54:55]
	v_mul_f64_e32 v[110:111], s[18:19], v[110:111]
	v_mul_f64_e32 v[114:115], s[12:13], v[114:115]
	v_add_f64_e64 v[84:85], v[94:95], -v[84:85]
	v_add_f64_e64 v[56:57], v[64:65], -v[56:57]
	v_mul_f64_e32 v[76:77], s[12:13], v[76:77]
	v_mul_f64_e32 v[104:105], s[14:15], v[124:125]
	;; [unrolled: 1-line block ×3, first 2 shown]
	v_add_f64_e32 v[42:43], v[46:47], v[42:43]
	v_add_f64_e32 v[38:39], v[70:71], v[38:39]
	v_mul_lo_u32 v137, 0x78, v136
	v_mul_lo_u32 v133, 0x78, v135
	v_add_nc_u32_e32 v33, 0x70, v102
	s_delay_alu instid0(VALU_DEP_1)
	v_cmp_gt_u32_e32 vcc_lo, 0x78, v33
	v_add_f64_e32 v[36:37], v[30:31], v[48:49]
	v_add_f64_e32 v[34:35], v[26:27], v[50:51]
	v_mul_f64_e32 v[30:31], s[14:15], v[62:63]
	v_mul_f64_e32 v[112:113], s[12:13], v[112:113]
	v_add_f64_e32 v[28:29], v[28:29], v[52:53]
	v_mul_f64_e32 v[94:95], s[20:21], v[116:117]
	v_mul_f64_e32 v[118:119], s[18:19], v[118:119]
	;; [unrolled: 3-line block ×3, first 2 shown]
	v_sub_nc_u32_e32 v132, v134, v137
	v_add_f64_e32 v[40:41], v[44:45], v[40:41]
	v_add_f64_e32 v[44:45], v[64:65], v[60:61]
	v_fma_f64 v[46:47], v[128:129], s[8:9], v[72:73]
	v_fma_f64 v[60:61], v[108:109], s[20:21], v[74:75]
	;; [unrolled: 1-line block ×3, first 2 shown]
	s_wait_alu 0xfffe
	v_fma_f64 v[86:87], v[128:129], s[16:17], -v[86:87]
	v_fma_f64 v[72:73], v[98:99], s[14:15], -v[72:73]
	;; [unrolled: 1-line block ×5, first 2 shown]
	v_fma_f64 v[74:75], v[54:55], s[8:9], v[110:111]
	v_fma_f64 v[98:99], v[122:123], s[20:21], v[114:115]
	v_fma_f64 v[62:63], v[62:63], s[14:15], -v[110:111]
	v_fma_f64 v[64:65], v[126:127], s[20:21], v[76:77]
	v_fma_f64 v[104:105], v[106:107], s[16:17], -v[104:105]
	v_fma_f64 v[92:93], v[90:91], s[22:23], -v[92:93]
	;; [unrolled: 1-line block ×3, first 2 shown]
	v_mad_co_u64_u32 v[106:107], null, 0x348, v136, v[132:133]
	v_mov_b32_e32 v107, v32
	v_fma_f64 v[48:49], v[48:49], s[6:7], v[36:37]
	v_fma_f64 v[50:51], v[50:51], s[6:7], v[34:35]
	v_fma_f64 v[30:31], v[54:55], s[16:17], -v[30:31]
	v_fma_f64 v[54:55], v[116:117], s[20:21], v[112:113]
	v_fma_f64 v[52:53], v[52:53], s[6:7], v[28:29]
	v_fma_f64 v[94:95], v[84:85], s[22:23], -v[94:95]
	v_fma_f64 v[108:109], v[56:57], s[8:9], v[118:119]
	v_fma_f64 v[66:67], v[66:67], s[6:7], v[26:27]
	v_fma_f64 v[84:85], v[84:85], s[24:25], -v[112:113]
	v_fma_f64 v[56:57], v[56:57], s[16:17], -v[130:131]
	v_fma_f64 v[110:111], v[120:121], s[14:15], -v[118:119]
	;; [unrolled: 1-line block ×4, first 2 shown]
	v_add_co_u32 v24, s1, s10, v68
	s_wait_alu 0xf1ff
	v_add_co_ci_u32_e64 v25, s1, s11, v69, s1
	v_sub_nc_u32_e32 v68, v102, v133
	s_delay_alu instid0(VALU_DEP_3) | instskip(SKIP_1) | instid1(VALU_DEP_3)
	v_add_co_u32 v24, s1, v24, v96
	s_wait_alu 0xf1ff
	v_add_co_ci_u32_e64 v25, s1, v25, v97, s1
	v_fma_f64 v[96:97], v[38:39], s[2:3], v[70:71]
	v_fma_f64 v[70:71], v[42:43], s[2:3], v[86:87]
	;; [unrolled: 1-line block ×3, first 2 shown]
	v_lshlrev_b32_e32 v116, 4, v68
	v_lshlrev_b64_e32 v[68:69], 4, v[106:107]
	v_fma_f64 v[46:47], v[42:43], s[2:3], v[46:47]
	v_fma_f64 v[42:43], v[42:43], s[2:3], v[72:73]
	v_fma_f64 v[62:63], v[40:41], s[2:3], v[62:63]
	v_fma_f64 v[78:79], v[38:39], s[2:3], v[78:79]
	v_add_co_u32 v116, s1, v24, v116
	s_wait_alu 0xf1ff
	v_add_co_ci_u32_e64 v117, s1, 0, v25, s1
	v_add_co_u32 v118, s1, v24, v68
	s_wait_alu 0xf1ff
	v_add_co_ci_u32_e64 v119, s1, v25, v69, s1
	v_add_f64_e32 v[90:91], v[60:61], v[48:49]
	v_add_f64_e32 v[60:61], v[88:89], v[48:49]
	v_fma_f64 v[86:87], v[40:41], s[2:3], v[30:31]
	v_add_f64_e32 v[54:55], v[54:55], v[52:53]
	v_add_f64_e32 v[88:89], v[94:95], v[52:53]
	v_fma_f64 v[94:95], v[44:45], s[2:3], v[108:109]
	;; [unrolled: 3-line block ×3, first 2 shown]
	v_fma_f64 v[109:110], v[44:45], s[2:3], v[110:111]
	v_add_f64_e32 v[111:112], v[112:113], v[66:67]
	v_add_f64_e32 v[66:67], v[100:101], v[66:67]
	;; [unrolled: 1-line block ×4, first 2 shown]
	v_fma_f64 v[100:101], v[38:39], s[2:3], v[104:105]
	v_add_f64_e32 v[92:93], v[92:93], v[50:51]
	v_add_f64_e32 v[104:105], v[76:77], v[50:51]
	v_add_nc_u32_e32 v31, 0x78, v106
	s_delay_alu instid0(VALU_DEP_1) | instskip(SKIP_1) | instid1(VALU_DEP_1)
	v_lshlrev_b64_e32 v[38:39], 4, v[31:32]
	v_add_nc_u32_e32 v31, 0xf0, v106
	v_lshlrev_b64_e32 v[120:121], 4, v[31:32]
	v_add_nc_u32_e32 v31, 0x168, v106
	s_delay_alu instid0(VALU_DEP_4) | instskip(SKIP_2) | instid1(VALU_DEP_3)
	v_add_co_u32 v122, s1, v24, v38
	s_wait_alu 0xf1ff
	v_add_co_ci_u32_e64 v123, s1, v25, v39, s1
	v_lshlrev_b64_e32 v[124:125], 4, v[31:32]
	v_add_nc_u32_e32 v31, 0x1e0, v106
	v_add_f64_e32 v[40:41], v[46:47], v[90:91]
	v_add_f64_e32 v[44:45], v[70:71], v[60:61]
	v_add_f64_e64 v[56:57], v[60:61], -v[70:71]
	v_add_f64_e32 v[60:61], v[74:75], v[54:55]
	v_add_f64_e32 v[64:65], v[86:87], v[88:89]
	v_add_f64_e64 v[76:77], v[88:89], -v[86:87]
	v_add_f64_e64 v[86:87], v[54:55], -v[74:75]
	v_add_f64_e32 v[84:85], v[94:95], v[98:99]
	v_add_f64_e64 v[68:69], v[72:73], -v[62:63]
	v_add_f64_e32 v[72:73], v[62:63], v[72:73]
	v_add_f64_e32 v[74:75], v[107:108], v[111:112]
	v_add_f64_e64 v[70:71], v[66:67], -v[109:110]
	v_add_f64_e32 v[66:67], v[109:110], v[66:67]
	v_add_f64_e64 v[62:63], v[111:112], -v[107:108]
	v_add_f64_e64 v[48:49], v[58:59], -v[42:43]
	v_add_f64_e32 v[52:53], v[42:43], v[58:59]
	v_add_f64_e64 v[58:59], v[98:99], -v[94:95]
	v_add_f64_e64 v[90:91], v[90:91], -v[46:47]
	v_add_f64_e32 v[88:89], v[96:97], v[114:115]
	v_add_f64_e32 v[54:55], v[100:101], v[92:93]
	v_add_f64_e64 v[50:51], v[104:105], -v[78:79]
	v_add_f64_e32 v[46:47], v[78:79], v[104:105]
	v_add_f64_e64 v[42:43], v[92:93], -v[100:101]
	v_add_f64_e64 v[38:39], v[114:115], -v[96:97]
	v_lshlrev_b64_e32 v[92:93], 4, v[31:32]
	v_add_nc_u32_e32 v31, 0x258, v106
	v_add_co_u32 v78, s1, v24, v120
	s_wait_alu 0xf1ff
	v_add_co_ci_u32_e64 v79, s1, v25, v121, s1
	s_delay_alu instid0(VALU_DEP_3)
	v_lshlrev_b64_e32 v[96:97], 4, v[31:32]
	v_add_nc_u32_e32 v31, 0x2d0, v106
	v_add_co_u32 v94, s1, v24, v124
	s_wait_alu 0xf1ff
	v_add_co_ci_u32_e64 v95, s1, v25, v125, s1
	v_add_co_u32 v92, s1, v24, v92
	v_lshlrev_b64_e32 v[30:31], 4, v[31:32]
	s_wait_alu 0xf1ff
	v_add_co_ci_u32_e64 v93, s1, v25, v93, s1
	v_add_co_u32 v96, s1, v24, v96
	s_wait_alu 0xf1ff
	v_add_co_ci_u32_e64 v97, s1, v25, v97, s1
	v_add_co_u32 v30, s1, v24, v30
	s_wait_alu 0xf1ff
	v_add_co_ci_u32_e64 v31, s1, v25, v31, s1
	s_clause 0xd
	global_store_b128 v[116:117], v[26:29], off
	global_store_b128 v[116:117], v[84:87], off offset:1920
	global_store_b128 v[116:117], v[74:77], off offset:3840
	;; [unrolled: 1-line block ×6, first 2 shown]
	global_store_b128 v[118:119], v[34:37], off
	global_store_b128 v[122:123], v[88:91], off
	;; [unrolled: 1-line block ×7, first 2 shown]
	s_and_b32 exec_lo, exec_lo, vcc_lo
	s_cbranch_execz .LBB0_42
; %bb.41:
	v_add_nc_u32_e32 v26, -8, v102
	s_delay_alu instid0(VALU_DEP_1) | instskip(NEXT) | instid1(VALU_DEP_1)
	v_cndmask_b32_e64 v26, v26, v103, s0
	v_mul_i32_i24_e32 v31, 6, v26
	s_delay_alu instid0(VALU_DEP_1) | instskip(NEXT) | instid1(VALU_DEP_1)
	v_lshlrev_b64_e32 v[26:27], 4, v[31:32]
	v_add_co_u32 v30, vcc_lo, s4, v26
	s_wait_alu 0xfffd
	s_delay_alu instid0(VALU_DEP_2)
	v_add_co_ci_u32_e32 v31, vcc_lo, s5, v27, vcc_lo
	s_clause 0x5
	global_load_b128 v[26:29], v[30:31], off offset:1888
	global_load_b128 v[34:37], v[30:31], off offset:1904
	;; [unrolled: 1-line block ×6, first 2 shown]
	s_wait_loadcnt 0x5
	v_mul_f64_e32 v[30:31], v[6:7], v[28:29]
	v_mul_f64_e32 v[28:29], v[2:3], v[28:29]
	s_wait_loadcnt 0x4
	v_mul_f64_e32 v[54:55], v[20:21], v[36:37]
	v_mul_f64_e32 v[36:37], v[12:13], v[36:37]
	;; [unrolled: 3-line block ×6, first 2 shown]
	v_fma_f64 v[2:3], v[2:3], v[26:27], -v[30:31]
	v_fma_f64 v[6:7], v[6:7], v[26:27], v[28:29]
	v_fma_f64 v[12:13], v[12:13], v[34:35], -v[54:55]
	v_fma_f64 v[20:21], v[20:21], v[34:35], v[36:37]
	v_fma_f64 v[26:27], v[80:81], v[38:39], -v[56:57]
	v_fma_f64 v[28:29], v[82:83], v[38:39], v[40:41]
	v_fma_f64 v[10:11], v[10:11], v[42:43], -v[58:59]
	v_fma_f64 v[18:19], v[18:19], v[42:43], v[44:45]
	v_fma_f64 v[14:15], v[14:15], v[46:47], -v[60:61]
	v_fma_f64 v[22:23], v[22:23], v[46:47], v[48:49]
	v_fma_f64 v[8:9], v[8:9], v[50:51], -v[62:63]
	v_fma_f64 v[16:17], v[16:17], v[50:51], v[52:53]
	v_add_f64_e32 v[30:31], v[2:3], v[26:27]
	v_add_f64_e32 v[34:35], v[6:7], v[28:29]
	;; [unrolled: 1-line block ×4, first 2 shown]
	v_add_f64_e64 v[10:11], v[12:13], -v[10:11]
	v_add_f64_e64 v[12:13], v[20:21], -v[18:19]
	v_add_f64_e32 v[18:19], v[14:15], v[8:9]
	v_add_f64_e32 v[20:21], v[22:23], v[16:17]
	v_add_f64_e64 v[8:9], v[8:9], -v[14:15]
	v_add_f64_e64 v[14:15], v[16:17], -v[22:23]
	;; [unrolled: 1-line block ×4, first 2 shown]
	v_add_f64_e32 v[2:3], v[36:37], v[30:31]
	v_add_f64_e32 v[22:23], v[38:39], v[34:35]
	v_add_f64_e64 v[26:27], v[30:31], -v[18:19]
	v_add_f64_e64 v[28:29], v[34:35], -v[20:21]
	v_add_f64_e64 v[40:41], v[8:9], -v[10:11]
	v_add_f64_e64 v[42:43], v[14:15], -v[12:13]
	v_add_f64_e64 v[44:45], v[10:11], -v[16:17]
	v_add_f64_e64 v[46:47], v[12:13], -v[6:7]
	v_add_f64_e32 v[10:11], v[8:9], v[10:11]
	v_add_f64_e32 v[12:13], v[14:15], v[12:13]
	v_add_f64_e64 v[8:9], v[16:17], -v[8:9]
	v_add_f64_e64 v[14:15], v[6:7], -v[14:15]
	v_add_f64_e32 v[48:49], v[18:19], v[2:3]
	v_add_f64_e32 v[22:23], v[20:21], v[22:23]
	v_add_f64_e64 v[18:19], v[18:19], -v[36:37]
	v_add_f64_e64 v[20:21], v[20:21], -v[38:39]
	v_mul_f64_e32 v[26:27], s[20:21], v[26:27]
	v_mul_f64_e32 v[28:29], s[20:21], v[28:29]
	;; [unrolled: 1-line block ×6, first 2 shown]
	v_add_f64_e32 v[10:11], v[10:11], v[16:17]
	v_add_f64_e32 v[6:7], v[12:13], v[6:7]
	;; [unrolled: 1-line block ×4, first 2 shown]
	v_add_f64_e64 v[4:5], v[36:37], -v[30:31]
	v_add_f64_e64 v[30:31], v[38:39], -v[34:35]
	v_mul_f64_e32 v[34:35], s[12:13], v[18:19]
	v_mul_f64_e32 v[36:37], s[12:13], v[20:21]
	v_fma_f64 v[12:13], v[18:19], s[12:13], v[26:27]
	v_fma_f64 v[16:17], v[20:21], s[12:13], v[28:29]
	;; [unrolled: 1-line block ×4, first 2 shown]
	v_fma_f64 v[38:39], v[44:45], s[14:15], -v[40:41]
	v_fma_f64 v[40:41], v[46:47], s[14:15], -v[42:43]
	;; [unrolled: 1-line block ×4, first 2 shown]
	v_fma_f64 v[42:43], v[48:49], s[6:7], v[0:1]
	v_fma_f64 v[22:23], v[22:23], s[6:7], v[2:3]
	v_fma_f64 v[26:27], v[4:5], s[22:23], -v[26:27]
	v_fma_f64 v[28:29], v[30:31], s[22:23], -v[28:29]
	;; [unrolled: 1-line block ×4, first 2 shown]
	v_mov_b32_e32 v34, v32
	v_fma_f64 v[35:36], v[10:11], s[2:3], v[18:19]
	v_fma_f64 v[44:45], v[6:7], s[2:3], v[20:21]
	;; [unrolled: 1-line block ×6, first 2 shown]
	v_add_f64_e32 v[46:47], v[12:13], v[42:43]
	v_add_f64_e32 v[48:49], v[16:17], v[22:23]
	;; [unrolled: 1-line block ×6, first 2 shown]
	v_add_nc_u32_e32 v31, 0xe8, v102
	v_lshlrev_b64_e32 v[4:5], 4, v[33:34]
	s_delay_alu instid0(VALU_DEP_2) | instskip(SKIP_1) | instid1(VALU_DEP_3)
	v_lshlrev_b64_e32 v[33:34], 4, v[31:32]
	v_add_nc_u32_e32 v31, 0x160, v102
	v_add_co_u32 v41, vcc_lo, v24, v4
	s_wait_alu 0xfffd
	s_delay_alu instid0(VALU_DEP_4) | instskip(NEXT) | instid1(VALU_DEP_3)
	v_add_co_ci_u32_e32 v42, vcc_lo, v25, v5, vcc_lo
	v_lshlrev_b64_e32 v[50:51], 4, v[31:32]
	v_add_nc_u32_e32 v31, 0x1d8, v102
	v_add_co_u32 v33, vcc_lo, v24, v33
	s_wait_alu 0xfffd
	v_add_co_ci_u32_e32 v34, vcc_lo, v25, v34, vcc_lo
	v_add_f64_e32 v[4:5], v[44:45], v[46:47]
	v_add_f64_e64 v[6:7], v[48:49], -v[35:36]
	v_add_f64_e32 v[8:9], v[39:40], v[26:27]
	v_add_f64_e64 v[10:11], v[28:29], -v[37:38]
	v_add_f64_e64 v[12:13], v[16:17], -v[20:21]
	v_add_f64_e32 v[14:15], v[18:19], v[22:23]
	v_add_f64_e32 v[16:17], v[20:21], v[16:17]
	v_add_f64_e64 v[18:19], v[22:23], -v[18:19]
	v_add_f64_e64 v[20:21], v[26:27], -v[39:40]
	v_add_f64_e32 v[22:23], v[37:38], v[28:29]
	v_add_f64_e64 v[26:27], v[46:47], -v[44:45]
	v_add_f64_e32 v[28:29], v[35:36], v[48:49]
	v_lshlrev_b64_e32 v[35:36], 4, v[31:32]
	v_add_nc_u32_e32 v31, 0x250, v102
	v_add_co_u32 v37, vcc_lo, v24, v50
	s_wait_alu 0xfffd
	v_add_co_ci_u32_e32 v38, vcc_lo, v25, v51, vcc_lo
	s_delay_alu instid0(VALU_DEP_3) | instskip(SKIP_4) | instid1(VALU_DEP_3)
	v_lshlrev_b64_e32 v[39:40], 4, v[31:32]
	v_add_nc_u32_e32 v31, 0x2c8, v102
	v_add_co_u32 v35, vcc_lo, v24, v35
	s_wait_alu 0xfffd
	v_add_co_ci_u32_e32 v36, vcc_lo, v25, v36, vcc_lo
	v_lshlrev_b64_e32 v[43:44], 4, v[31:32]
	v_add_nc_u32_e32 v31, 0x340, v102
	v_add_co_u32 v39, vcc_lo, v24, v39
	s_wait_alu 0xfffd
	v_add_co_ci_u32_e32 v40, vcc_lo, v25, v40, vcc_lo
	s_delay_alu instid0(VALU_DEP_3) | instskip(SKIP_3) | instid1(VALU_DEP_3)
	v_lshlrev_b64_e32 v[30:31], 4, v[31:32]
	v_add_co_u32 v43, vcc_lo, v24, v43
	s_wait_alu 0xfffd
	v_add_co_ci_u32_e32 v44, vcc_lo, v25, v44, vcc_lo
	v_add_co_u32 v24, vcc_lo, v24, v30
	s_wait_alu 0xfffd
	v_add_co_ci_u32_e32 v25, vcc_lo, v25, v31, vcc_lo
	s_clause 0x6
	global_store_b128 v[41:42], v[0:3], off
	global_store_b128 v[33:34], v[4:7], off
	;; [unrolled: 1-line block ×7, first 2 shown]
.LBB0_42:
	s_nop 0
	s_sendmsg sendmsg(MSG_DEALLOC_VGPRS)
	s_endpgm
	.section	.rodata,"a",@progbits
	.p2align	6, 0x0
	.amdhsa_kernel fft_rtc_fwd_len840_factors_2_2_2_3_5_7_wgs_56_tpt_56_halfLds_dp_op_CI_CI_unitstride_sbrr_dirReg
		.amdhsa_group_segment_fixed_size 0
		.amdhsa_private_segment_fixed_size 0
		.amdhsa_kernarg_size 104
		.amdhsa_user_sgpr_count 2
		.amdhsa_user_sgpr_dispatch_ptr 0
		.amdhsa_user_sgpr_queue_ptr 0
		.amdhsa_user_sgpr_kernarg_segment_ptr 1
		.amdhsa_user_sgpr_dispatch_id 0
		.amdhsa_user_sgpr_private_segment_size 0
		.amdhsa_wavefront_size32 1
		.amdhsa_uses_dynamic_stack 0
		.amdhsa_enable_private_segment 0
		.amdhsa_system_sgpr_workgroup_id_x 1
		.amdhsa_system_sgpr_workgroup_id_y 0
		.amdhsa_system_sgpr_workgroup_id_z 0
		.amdhsa_system_sgpr_workgroup_info 0
		.amdhsa_system_vgpr_workitem_id 0
		.amdhsa_next_free_vgpr 162
		.amdhsa_next_free_sgpr 39
		.amdhsa_reserve_vcc 1
		.amdhsa_float_round_mode_32 0
		.amdhsa_float_round_mode_16_64 0
		.amdhsa_float_denorm_mode_32 3
		.amdhsa_float_denorm_mode_16_64 3
		.amdhsa_fp16_overflow 0
		.amdhsa_workgroup_processor_mode 1
		.amdhsa_memory_ordered 1
		.amdhsa_forward_progress 0
		.amdhsa_round_robin_scheduling 0
		.amdhsa_exception_fp_ieee_invalid_op 0
		.amdhsa_exception_fp_denorm_src 0
		.amdhsa_exception_fp_ieee_div_zero 0
		.amdhsa_exception_fp_ieee_overflow 0
		.amdhsa_exception_fp_ieee_underflow 0
		.amdhsa_exception_fp_ieee_inexact 0
		.amdhsa_exception_int_div_zero 0
	.end_amdhsa_kernel
	.text
.Lfunc_end0:
	.size	fft_rtc_fwd_len840_factors_2_2_2_3_5_7_wgs_56_tpt_56_halfLds_dp_op_CI_CI_unitstride_sbrr_dirReg, .Lfunc_end0-fft_rtc_fwd_len840_factors_2_2_2_3_5_7_wgs_56_tpt_56_halfLds_dp_op_CI_CI_unitstride_sbrr_dirReg
                                        ; -- End function
	.section	.AMDGPU.csdata,"",@progbits
; Kernel info:
; codeLenInByte = 12188
; NumSgprs: 41
; NumVgprs: 162
; ScratchSize: 0
; MemoryBound: 1
; FloatMode: 240
; IeeeMode: 1
; LDSByteSize: 0 bytes/workgroup (compile time only)
; SGPRBlocks: 5
; VGPRBlocks: 20
; NumSGPRsForWavesPerEU: 41
; NumVGPRsForWavesPerEU: 162
; Occupancy: 9
; WaveLimiterHint : 1
; COMPUTE_PGM_RSRC2:SCRATCH_EN: 0
; COMPUTE_PGM_RSRC2:USER_SGPR: 2
; COMPUTE_PGM_RSRC2:TRAP_HANDLER: 0
; COMPUTE_PGM_RSRC2:TGID_X_EN: 1
; COMPUTE_PGM_RSRC2:TGID_Y_EN: 0
; COMPUTE_PGM_RSRC2:TGID_Z_EN: 0
; COMPUTE_PGM_RSRC2:TIDIG_COMP_CNT: 0
	.text
	.p2alignl 7, 3214868480
	.fill 96, 4, 3214868480
	.type	__hip_cuid_ec61fd5e557390ce,@object ; @__hip_cuid_ec61fd5e557390ce
	.section	.bss,"aw",@nobits
	.globl	__hip_cuid_ec61fd5e557390ce
__hip_cuid_ec61fd5e557390ce:
	.byte	0                               ; 0x0
	.size	__hip_cuid_ec61fd5e557390ce, 1

	.ident	"AMD clang version 19.0.0git (https://github.com/RadeonOpenCompute/llvm-project roc-6.4.0 25133 c7fe45cf4b819c5991fe208aaa96edf142730f1d)"
	.section	".note.GNU-stack","",@progbits
	.addrsig
	.addrsig_sym __hip_cuid_ec61fd5e557390ce
	.amdgpu_metadata
---
amdhsa.kernels:
  - .args:
      - .actual_access:  read_only
        .address_space:  global
        .offset:         0
        .size:           8
        .value_kind:     global_buffer
      - .offset:         8
        .size:           8
        .value_kind:     by_value
      - .actual_access:  read_only
        .address_space:  global
        .offset:         16
        .size:           8
        .value_kind:     global_buffer
      - .actual_access:  read_only
        .address_space:  global
        .offset:         24
        .size:           8
        .value_kind:     global_buffer
      - .actual_access:  read_only
        .address_space:  global
        .offset:         32
        .size:           8
        .value_kind:     global_buffer
      - .offset:         40
        .size:           8
        .value_kind:     by_value
      - .actual_access:  read_only
        .address_space:  global
        .offset:         48
        .size:           8
        .value_kind:     global_buffer
      - .actual_access:  read_only
        .address_space:  global
        .offset:         56
        .size:           8
        .value_kind:     global_buffer
      - .offset:         64
        .size:           4
        .value_kind:     by_value
      - .actual_access:  read_only
        .address_space:  global
        .offset:         72
        .size:           8
        .value_kind:     global_buffer
      - .actual_access:  read_only
        .address_space:  global
        .offset:         80
        .size:           8
        .value_kind:     global_buffer
      - .actual_access:  read_only
        .address_space:  global
        .offset:         88
        .size:           8
        .value_kind:     global_buffer
      - .actual_access:  write_only
        .address_space:  global
        .offset:         96
        .size:           8
        .value_kind:     global_buffer
    .group_segment_fixed_size: 0
    .kernarg_segment_align: 8
    .kernarg_segment_size: 104
    .language:       OpenCL C
    .language_version:
      - 2
      - 0
    .max_flat_workgroup_size: 56
    .name:           fft_rtc_fwd_len840_factors_2_2_2_3_5_7_wgs_56_tpt_56_halfLds_dp_op_CI_CI_unitstride_sbrr_dirReg
    .private_segment_fixed_size: 0
    .sgpr_count:     41
    .sgpr_spill_count: 0
    .symbol:         fft_rtc_fwd_len840_factors_2_2_2_3_5_7_wgs_56_tpt_56_halfLds_dp_op_CI_CI_unitstride_sbrr_dirReg.kd
    .uniform_work_group_size: 1
    .uses_dynamic_stack: false
    .vgpr_count:     162
    .vgpr_spill_count: 0
    .wavefront_size: 32
    .workgroup_processor_mode: 1
amdhsa.target:   amdgcn-amd-amdhsa--gfx1201
amdhsa.version:
  - 1
  - 2
...

	.end_amdgpu_metadata
